;; amdgpu-corpus repo=ROCm/rocFFT kind=compiled arch=gfx950 opt=O3
	.text
	.amdgcn_target "amdgcn-amd-amdhsa--gfx950"
	.amdhsa_code_object_version 6
	.protected	bluestein_single_back_len1404_dim1_dp_op_CI_CI ; -- Begin function bluestein_single_back_len1404_dim1_dp_op_CI_CI
	.globl	bluestein_single_back_len1404_dim1_dp_op_CI_CI
	.p2align	8
	.type	bluestein_single_back_len1404_dim1_dp_op_CI_CI,@function
bluestein_single_back_len1404_dim1_dp_op_CI_CI: ; @bluestein_single_back_len1404_dim1_dp_op_CI_CI
; %bb.0:
	s_load_dwordx4 s[12:15], s[0:1], 0x28
	v_mul_u32_u24_e32 v1, 0x231, v0
	v_mov_b32_e32 v235, 0
	v_add_u32_sdwa v6, s2, v1 dst_sel:DWORD dst_unused:UNUSED_PAD src0_sel:DWORD src1_sel:WORD_1
	v_mov_b32_e32 v7, v235
	s_waitcnt lgkmcnt(0)
	v_cmp_gt_u64_e32 vcc, s[12:13], v[6:7]
	s_and_saveexec_b64 s[2:3], vcc
	s_cbranch_execz .LBB0_10
; %bb.1:
	s_load_dwordx4 s[4:7], s[0:1], 0x18
	s_load_dwordx4 s[8:11], s[0:1], 0x0
	v_mov_b32_e32 v2, s14
	v_mov_b32_e32 v3, s15
	s_movk_i32 s2, 0x75
	s_waitcnt lgkmcnt(0)
	s_load_dwordx4 s[12:15], s[4:5], 0x0
	v_mul_lo_u16_sdwa v1, v1, s2 dst_sel:DWORD dst_unused:UNUSED_PAD src0_sel:WORD_1 src1_sel:DWORD
	v_sub_u16_e32 v234, v0, v1
	v_accvgpr_write_b32 a20, v6
	v_mov_b32_e32 v38, 0x2be0
	s_waitcnt lgkmcnt(0)
	v_mad_u64_u32 v[0:1], s[2:3], s14, v6, 0
	v_mov_b32_e32 v4, v1
	v_mad_u64_u32 v[4:5], s[2:3], s15, v6, v[4:5]
	v_mov_b32_e32 v1, v4
	v_mad_u64_u32 v[4:5], s[2:3], s12, v234, 0
	v_mov_b32_e32 v6, v5
	v_mad_u64_u32 v[6:7], s[2:3], s13, v234, v[6:7]
	v_mov_b32_e32 v5, v6
	v_lshl_add_u64 v[0:1], v[0:1], 4, v[2:3]
	v_lshl_add_u64 v[2:3], v[4:5], 4, v[0:1]
	v_lshlrev_b32_e32 v232, 4, v234
	v_mov_b32_e32 v233, v235
	v_mad_u64_u32 v[4:5], s[2:3], s12, v38, v[2:3]
	v_lshl_add_u64 v[0:1], s[8:9], 0, v[232:233]
	s_mul_i32 s2, s13, 0x2be0
	s_movk_i32 s3, 0x2000
	global_load_dwordx4 v[48:51], v[2:3], off
	v_add_u32_e32 v5, s2, v5
	v_add_co_u32_e32 v2, vcc, s3, v0
	v_mov_b32_e32 v36, 0xffffdb70
	s_mul_i32 s3, s13, 0xffffdb70
	v_addc_co_u32_e32 v3, vcc, 0, v1, vcc
	v_mad_u64_u32 v[6:7], s[4:5], s12, v36, v[4:5]
	s_sub_i32 s3, s3, s12
	global_load_dwordx4 v[40:43], v[2:3], off offset:3040
	v_add_u32_e32 v7, s3, v7
	global_load_dwordx4 v[56:59], v[4:5], off
	global_load_dwordx4 v[52:55], v[6:7], off
	global_load_dwordx4 v[92:95], v232, s[8:9]
	global_load_dwordx4 v[72:75], v232, s[8:9] offset:1872
	v_mad_u64_u32 v[12:13], s[4:5], s12, v38, v[6:7]
	v_add_u32_e32 v13, s2, v13
	s_movk_i32 s4, 0x3000
	v_add_co_u32_e32 v16, vcc, s4, v0
	v_mad_u64_u32 v[14:15], s[4:5], s12, v36, v[12:13]
	s_nop 0
	v_addc_co_u32_e32 v17, vcc, 0, v1, vcc
	v_add_u32_e32 v15, s3, v15
	global_load_dwordx4 v[4:7], v[12:13], off
	global_load_dwordx4 v[8:11], v[14:15], off
	global_load_dwordx4 v[60:63], v232, s[8:9] offset:3744
	v_mad_u64_u32 v[18:19], s[4:5], s12, v38, v[14:15]
	global_load_dwordx4 v[96:99], v[16:17], off offset:816
	v_add_u32_e32 v19, s2, v19
	v_mad_u64_u32 v[20:21], s[4:5], s12, v36, v[18:19]
	v_add_u32_e32 v21, s3, v21
	s_movk_i32 s4, 0x1000
	global_load_dwordx4 v[12:15], v[18:19], off
	global_load_dwordx4 v[44:47], v[16:17], off offset:2688
	v_add_co_u32_e32 v28, vcc, s4, v0
	v_mad_u64_u32 v[24:25], s[4:5], s12, v38, v[20:21]
	s_nop 0
	v_addc_co_u32_e32 v29, vcc, 0, v1, vcc
	v_add_u32_e32 v25, s2, v25
	s_movk_i32 s4, 0x4000
	global_load_dwordx4 v[16:19], v[20:21], off
	global_load_dwordx4 v[80:83], v[28:29], off offset:1520
	v_add_co_u32_e32 v32, vcc, s4, v0
	v_mad_u64_u32 v[30:31], s[4:5], s12, v36, v[24:25]
	s_nop 0
	v_addc_co_u32_e32 v33, vcc, 0, v1, vcc
	global_load_dwordx4 v[88:91], v[32:33], off offset:464
	v_add_u32_e32 v31, s3, v31
	global_load_dwordx4 v[20:23], v[24:25], off
	v_mad_u64_u32 v[34:35], s[4:5], s12, v38, v[30:31]
	v_add_u32_e32 v35, s2, v35
	global_load_dwordx4 v[24:27], v[30:31], off
	global_load_dwordx4 v[68:71], v[28:29], off offset:3392
	v_mad_u64_u32 v[36:37], s[4:5], s12, v36, v[34:35]
	v_add_u32_e32 v37, s3, v37
	global_load_dwordx4 v[28:31], v[34:35], off
	global_load_dwordx4 v[64:67], v[32:33], off offset:2336
	s_nop 0
	global_load_dwordx4 v[32:35], v[36:37], off
	global_load_dwordx4 v[76:79], v[2:3], off offset:1168
	v_mad_u64_u32 v[2:3], s[4:5], s12, v38, v[36:37]
	v_add_u32_e32 v3, s2, v3
	s_movk_i32 s2, 0x5000
	v_add_co_u32_e32 v0, vcc, s2, v0
	global_load_dwordx4 v[36:39], v[2:3], off
	s_nop 0
	v_addc_co_u32_e32 v1, vcc, 0, v1, vcc
	global_load_dwordx4 v[84:87], v[0:1], off offset:112
	s_load_dwordx4 s[4:7], s[6:7], 0x0
	s_mov_b64 s[2:3], 0x75
	v_lshl_add_u64 v[204:205], v[234:235], 0, s[2:3]
	s_mov_b64 s[2:3], 0xea
	v_lshl_add_u64 v[202:203], v[234:235], 0, s[2:3]
	;; [unrolled: 2-line block ×3, first 2 shown]
	v_lshlrev_b32_e32 v238, 5, v202
	v_lshlrev_b32_e32 v240, 5, v200
	s_movk_i32 s2, 0xfc
	v_lshlrev_b32_e32 v239, 1, v204
	s_mov_b32 s13, 0xbfebb67a
                                        ; implicit-def: $vgpr188_vgpr189
	s_waitcnt vmcnt(22)
	v_accvgpr_write_b32 a0, v40
	s_waitcnt vmcnt(19)
	v_mul_f64 v[0:1], v[50:51], v[94:95]
	v_mul_f64 v[2:3], v[48:49], v[94:95]
	v_fmac_f64_e32 v[0:1], v[48:49], v[92:93]
	v_fma_f64 v[2:3], v[50:51], v[92:93], -v[2:3]
	ds_write_b128 v232, v[0:3]
	v_mul_f64 v[0:1], v[58:59], v[42:43]
	v_mul_f64 v[2:3], v[56:57], v[42:43]
	v_fmac_f64_e32 v[0:1], v[56:57], v[40:41]
	v_fma_f64 v[2:3], v[58:59], v[40:41], -v[2:3]
	ds_write_b128 v232, v[0:3] offset:11232
	s_waitcnt vmcnt(18)
	v_mul_f64 v[0:1], v[54:55], v[74:75]
	v_mul_f64 v[2:3], v[52:53], v[74:75]
	v_fmac_f64_e32 v[0:1], v[52:53], v[72:73]
	v_fma_f64 v[2:3], v[54:55], v[72:73], -v[2:3]
	ds_write_b128 v232, v[0:3] offset:1872
	v_accvgpr_write_b32 a1, v41
	s_waitcnt vmcnt(14)
	v_mul_f64 v[0:1], v[6:7], v[98:99]
	v_mul_f64 v[2:3], v[4:5], v[98:99]
	v_fmac_f64_e32 v[0:1], v[4:5], v[96:97]
	v_fma_f64 v[2:3], v[6:7], v[96:97], -v[2:3]
	ds_write_b128 v232, v[0:3] offset:13104
	v_mul_f64 v[0:1], v[10:11], v[62:63]
	v_mul_f64 v[2:3], v[8:9], v[62:63]
	v_fmac_f64_e32 v[0:1], v[8:9], v[60:61]
	v_fma_f64 v[2:3], v[10:11], v[60:61], -v[2:3]
	ds_write_b128 v232, v[0:3] offset:3744
	s_waitcnt vmcnt(12)
	v_mul_f64 v[0:1], v[14:15], v[46:47]
	v_mul_f64 v[2:3], v[12:13], v[46:47]
	v_fmac_f64_e32 v[0:1], v[12:13], v[44:45]
	v_fma_f64 v[2:3], v[14:15], v[44:45], -v[2:3]
	ds_write_b128 v232, v[0:3] offset:14976
	v_accvgpr_write_b32 a4, v44
	s_waitcnt vmcnt(10)
	v_mul_f64 v[0:1], v[18:19], v[82:83]
	v_mul_f64 v[2:3], v[16:17], v[82:83]
	v_fmac_f64_e32 v[0:1], v[16:17], v[80:81]
	v_fma_f64 v[2:3], v[18:19], v[80:81], -v[2:3]
	ds_write_b128 v232, v[0:3] offset:5616
	v_accvgpr_write_b32 a2, v42
	v_accvgpr_write_b32 a3, v43
	;; [unrolled: 1-line block ×4, first 2 shown]
	s_waitcnt vmcnt(8)
	v_mul_f64 v[0:1], v[22:23], v[90:91]
	v_mul_f64 v[2:3], v[20:21], v[90:91]
	v_fmac_f64_e32 v[0:1], v[20:21], v[88:89]
	v_fma_f64 v[2:3], v[22:23], v[88:89], -v[2:3]
	ds_write_b128 v232, v[0:3] offset:16848
	s_waitcnt vmcnt(6)
	v_mul_f64 v[2:3], v[26:27], v[70:71]
	v_mul_f64 v[4:5], v[24:25], v[70:71]
	v_fmac_f64_e32 v[2:3], v[24:25], v[68:69]
	v_fma_f64 v[4:5], v[26:27], v[68:69], -v[4:5]
	ds_write_b128 v232, v[2:5] offset:7488
	;; [unrolled: 6-line block ×4, first 2 shown]
	s_waitcnt vmcnt(0)
	v_mul_f64 v[2:3], v[38:39], v[86:87]
	v_mul_f64 v[4:5], v[36:37], v[86:87]
	v_fmac_f64_e32 v[2:3], v[36:37], v[84:85]
	v_fma_f64 v[4:5], v[38:39], v[84:85], -v[4:5]
	v_accvgpr_write_b32 a7, v47
	ds_write_b128 v232, v[2:5] offset:20592
	s_waitcnt lgkmcnt(0)
	s_barrier
	ds_read_b128 v[2:5], v232
	ds_read_b128 v[6:9], v232 offset:1872
	ds_read_b128 v[10:13], v232 offset:11232
	;; [unrolled: 1-line block ×11, first 2 shown]
	v_accvgpr_write_b32 a46, v96
	v_accvgpr_write_b32 a12, v64
	s_waitcnt lgkmcnt(9)
	v_add_f64 v[10:11], v[2:3], -v[10:11]
	v_add_f64 v[12:13], v[4:5], -v[12:13]
	v_accvgpr_write_b32 a47, v97
	v_accvgpr_write_b32 a48, v98
	;; [unrolled: 1-line block ×3, first 2 shown]
	v_lshlrev_b32_e32 v1, 1, v234
	v_accvgpr_write_b32 a13, v65
	v_accvgpr_write_b32 a14, v66
	;; [unrolled: 1-line block ×3, first 2 shown]
	v_fma_f64 v[2:3], v[2:3], 2.0, -v[10:11]
	v_fma_f64 v[4:5], v[4:5], 2.0, -v[12:13]
	s_waitcnt lgkmcnt(8)
	v_add_f64 v[14:15], v[6:7], -v[14:15]
	v_add_f64 v[16:17], v[8:9], -v[16:17]
	s_waitcnt lgkmcnt(5)
	v_add_f64 v[26:27], v[18:19], -v[26:27]
	v_add_f64 v[28:29], v[20:21], -v[28:29]
	;; [unrolled: 3-line block ×5, first 2 shown]
	v_lshlrev_b32_e32 v98, 5, v234
	v_and_b32_e32 v65, 1, v234
	v_add_u32_e32 v0, 0x249, v234
	v_fma_f64 v[6:7], v[6:7], 2.0, -v[14:15]
	v_fma_f64 v[8:9], v[8:9], 2.0, -v[16:17]
	v_fma_f64 v[18:19], v[18:19], 2.0, -v[26:27]
	v_fma_f64 v[20:21], v[20:21], 2.0, -v[28:29]
	v_fma_f64 v[22:23], v[22:23], 2.0, -v[30:31]
	v_fma_f64 v[24:25], v[24:25], 2.0, -v[32:33]
	v_fma_f64 v[34:35], v[34:35], 2.0, -v[42:43]
	v_fma_f64 v[36:37], v[36:37], 2.0, -v[44:45]
	v_fma_f64 v[38:39], v[38:39], 2.0, -v[46:47]
	v_fma_f64 v[40:41], v[40:41], 2.0, -v[48:49]
	s_barrier
	ds_write_b128 v98, v[2:5]
	ds_write_b128 v98, v[10:13] offset:16
	v_lshlrev_b32_e32 v99, 5, v204
	v_add_u32_e32 v64, 0x3a8, v1
	v_lshlrev_b32_e32 v206, 4, v1
	v_lshlrev_b32_e32 v2, 4, v65
	ds_write_b128 v99, v[6:9]
	ds_write_b128 v99, v[14:17] offset:16
	ds_write_b128 v238, v[18:21]
	ds_write_b128 v238, v[26:29] offset:16
	;; [unrolled: 2-line block ×3, first 2 shown]
	v_lshlrev_b32_e32 v100, 4, v64
	ds_write_b128 v206, v[34:37] offset:14976
	ds_write_b128 v100, v[42:45] offset:16
	v_lshlrev_b32_e32 v101, 5, v0
	ds_write_b128 v98, v[38:41] offset:18720
	ds_write_b128 v101, v[46:49] offset:16
	s_waitcnt lgkmcnt(0)
	s_barrier
	global_load_dwordx4 v[48:51], v2, s[10:11]
	v_and_b32_e32 v67, 1, v0
	v_accvgpr_write_b32 a16, v68
	v_and_b32_e32 v66, 1, v204
	v_lshlrev_b32_e32 v3, 4, v67
	v_accvgpr_write_b32 a17, v69
	v_accvgpr_write_b32 a18, v70
	;; [unrolled: 1-line block ×3, first 2 shown]
	v_lshlrev_b32_e32 v2, 4, v66
	global_load_dwordx4 v[52:55], v3, s[10:11]
	global_load_dwordx2 v[102:103], v2, s[10:11]
	v_and_b32_e32 v68, 1, v200
	v_lshlrev_b32_e32 v2, 4, v68
	global_load_dwordx4 v[56:59], v2, s[10:11]
	global_load_dwordx2 v[104:105], v3, s[10:11] offset:8
	ds_read_b128 v[2:5], v232 offset:11232
	ds_read_b128 v[6:9], v232 offset:13104
	;; [unrolled: 1-line block ×6, first 2 shown]
	v_accvgpr_write_b32 a8, v60
	v_accvgpr_write_b32 a9, v61
	;; [unrolled: 1-line block ×4, first 2 shown]
	v_and_or_b32 v1, v1, s2, v65
	s_movk_i32 s2, 0x1fc
	v_lshlrev_b32_e32 v106, 4, v1
	v_and_or_b32 v1, v239, s2, v66
	v_lshlrev_b32_e32 v107, 4, v1
	s_movk_i32 s2, 0x3fc
	v_lshlrev_b32_e32 v1, 1, v202
	v_and_or_b32 v1, v1, s2, v65
	v_lshlrev_b32_e32 v108, 4, v1
	v_lshlrev_b32_e32 v1, 1, v200
	v_and_or_b32 v1, v1, s2, v68
	s_movk_i32 s2, 0x7fc
	v_lshlrev_b32_e32 v109, 4, v1
	v_and_or_b32 v1, v64, s2, v65
	v_lshlrev_b32_e32 v0, 1, v0
	v_lshlrev_b32_e32 v110, 4, v1
	s_movk_i32 s2, 0x5fc
	v_and_or_b32 v0, v0, s2, v67
	v_lshlrev_b32_e32 v111, 4, v0
	v_accvgpr_write_b32 a22, v72
	v_accvgpr_write_b32 a23, v73
	;; [unrolled: 1-line block ×20, first 2 shown]
	s_mov_b32 s2, 0xe8584caa
	s_mov_b32 s3, 0x3febb67a
	;; [unrolled: 1-line block ×3, first 2 shown]
	v_accvgpr_write_b32 a34, v84
	v_accvgpr_write_b32 a35, v85
	;; [unrolled: 1-line block ×4, first 2 shown]
	s_waitcnt vmcnt(4) lgkmcnt(5)
	v_mul_f64 v[26:27], v[4:5], v[50:51]
	v_fma_f64 v[26:27], v[2:3], v[48:49], -v[26:27]
	v_mul_f64 v[28:29], v[2:3], v[50:51]
	s_waitcnt lgkmcnt(1)
	v_mul_f64 v[44:45], v[18:19], v[50:51]
	v_fmac_f64_e32 v[28:29], v[4:5], v[48:49]
	v_fmac_f64_e32 v[44:45], v[20:21], v[48:49]
	v_mul_f64 v[36:37], v[10:11], v[50:51]
	v_fmac_f64_e32 v[36:37], v[12:13], v[48:49]
	s_waitcnt vmcnt(3)
	v_mul_f64 v[2:3], v[8:9], v[54:55]
	s_waitcnt vmcnt(2)
	v_fma_f64 v[30:31], v[6:7], v[102:103], -v[2:3]
	v_mul_f64 v[2:3], v[12:13], v[50:51]
	v_fma_f64 v[34:35], v[10:11], v[48:49], -v[2:3]
	s_waitcnt vmcnt(1)
	v_mul_f64 v[2:3], v[16:17], v[58:59]
	v_fma_f64 v[38:39], v[14:15], v[56:57], -v[2:3]
	v_mul_f64 v[2:3], v[20:21], v[50:51]
	v_fma_f64 v[42:43], v[18:19], v[48:49], -v[2:3]
	ds_read_b128 v[2:5], v232
	ds_read_b128 v[18:21], v232 offset:3744
	v_mul_f64 v[32:33], v[6:7], v[54:55]
	s_waitcnt vmcnt(0) lgkmcnt(2)
	v_mul_f64 v[6:7], v[24:25], v[104:105]
	v_mul_f64 v[62:63], v[22:23], v[104:105]
	v_fmac_f64_e32 v[32:33], v[8:9], v[102:103]
	v_fma_f64 v[46:47], v[22:23], v[52:53], -v[6:7]
	v_fmac_f64_e32 v[62:63], v[24:25], v[52:53]
	ds_read_b128 v[22:25], v232 offset:5616
	ds_read_b128 v[6:9], v232 offset:1872
	v_mul_f64 v[40:41], v[14:15], v[58:59]
	s_waitcnt lgkmcnt(3)
	v_add_f64 v[10:11], v[2:3], -v[26:27]
	v_add_f64 v[12:13], v[4:5], -v[28:29]
	s_waitcnt lgkmcnt(2)
	v_add_f64 v[26:27], v[18:19], -v[34:35]
	v_add_f64 v[28:29], v[20:21], -v[36:37]
	ds_read_b128 v[34:37], v232 offset:7488
	v_fmac_f64_e32 v[40:41], v[16:17], v[56:57]
	s_waitcnt lgkmcnt(1)
	v_add_f64 v[14:15], v[6:7], -v[30:31]
	v_add_f64 v[16:17], v[8:9], -v[32:33]
	;; [unrolled: 1-line block ×4, first 2 shown]
	ds_read_b128 v[38:41], v232 offset:9360
	s_waitcnt lgkmcnt(1)
	v_add_f64 v[42:43], v[34:35], -v[42:43]
	v_add_f64 v[44:45], v[36:37], -v[44:45]
	v_fma_f64 v[2:3], v[2:3], 2.0, -v[10:11]
	v_fma_f64 v[4:5], v[4:5], 2.0, -v[12:13]
	;; [unrolled: 1-line block ×10, first 2 shown]
	s_waitcnt lgkmcnt(0)
	v_add_f64 v[60:61], v[38:39], -v[46:47]
	v_add_f64 v[62:63], v[40:41], -v[62:63]
	s_barrier
	ds_write_b128 v106, v[2:5]
	ds_write_b128 v106, v[10:13] offset:32
	ds_write_b128 v107, v[6:9]
	ds_write_b128 v107, v[14:17] offset:32
	;; [unrolled: 2-line block ×5, first 2 shown]
	v_and_b32_e32 v36, 3, v234
	v_fma_f64 v[38:39], v[38:39], 2.0, -v[60:61]
	v_fma_f64 v[40:41], v[40:41], 2.0, -v[62:63]
	v_lshlrev_b32_e32 v0, 5, v36
	ds_write_b128 v111, v[38:41]
	ds_write_b128 v111, v[60:63] offset:32
	s_waitcnt lgkmcnt(0)
	s_barrier
	global_load_dwordx4 v[64:67], v0, s[10:11] offset:32
	global_load_dwordx4 v[60:63], v0, s[10:11] offset:48
	v_and_b32_e32 v37, 3, v204
	v_lshlrev_b32_e32 v0, 5, v37
	global_load_dwordx4 v[68:71], v0, s[10:11] offset:32
	global_load_dwordx4 v[72:75], v0, s[10:11] offset:48
	v_and_b32_e32 v38, 3, v202
	v_lshlrev_b32_e32 v0, 5, v38
	;; [unrolled: 4-line block ×3, first 2 shown]
	global_load_dwordx4 v[88:91], v0, s[10:11] offset:32
	global_load_dwordx4 v[92:95], v0, s[10:11] offset:48
	ds_read_b128 v[0:3], v232 offset:7488
	ds_read_b128 v[4:7], v232 offset:9360
	;; [unrolled: 1-line block ×4, first 2 shown]
	ds_read_b128 v[144:147], v232
	ds_read_b128 v[152:155], v232 offset:1872
	ds_read_b128 v[164:167], v232 offset:3744
	;; [unrolled: 1-line block ×3, first 2 shown]
	s_waitcnt vmcnt(7) lgkmcnt(7)
	v_mul_f64 v[16:17], v[2:3], v[66:67]
	v_fma_f64 v[16:17], v[0:1], v[64:65], -v[16:17]
	v_mul_f64 v[18:19], v[0:1], v[66:67]
	s_waitcnt vmcnt(6) lgkmcnt(5)
	v_mul_f64 v[0:1], v[10:11], v[62:63]
	v_fma_f64 v[20:21], v[8:9], v[60:61], -v[0:1]
	s_waitcnt vmcnt(5)
	v_mul_f64 v[0:1], v[6:7], v[70:71]
	v_fmac_f64_e32 v[18:19], v[2:3], v[64:65]
	v_fma_f64 v[24:25], v[4:5], v[68:69], -v[0:1]
	ds_read_b128 v[0:3], v232 offset:11232
	v_mul_f64 v[22:23], v[8:9], v[62:63]
	v_fmac_f64_e32 v[22:23], v[10:11], v[60:61]
	ds_read_b128 v[8:11], v232 offset:18720
	v_mul_f64 v[26:27], v[4:5], v[70:71]
	s_waitcnt vmcnt(4) lgkmcnt(6)
	v_mul_f64 v[4:5], v[14:15], v[74:75]
	v_fmac_f64_e32 v[26:27], v[6:7], v[68:69]
	v_fma_f64 v[28:29], v[12:13], v[72:73], -v[4:5]
	v_mul_f64 v[12:13], v[12:13], v[74:75]
	ds_read_b128 v[4:7], v232 offset:13104
	v_fmac_f64_e32 v[12:13], v[14:15], v[72:73]
	s_waitcnt vmcnt(3) lgkmcnt(2)
	v_mul_f64 v[14:15], v[2:3], v[78:79]
	v_mul_f64 v[30:31], v[0:1], v[78:79]
	v_fma_f64 v[14:15], v[0:1], v[76:77], -v[14:15]
	v_fmac_f64_e32 v[30:31], v[2:3], v[76:77]
	ds_read_b128 v[0:3], v232 offset:20592
	s_waitcnt vmcnt(2) lgkmcnt(2)
	v_mul_f64 v[32:33], v[10:11], v[82:83]
	v_fma_f64 v[32:33], v[8:9], v[80:81], -v[32:33]
	v_mul_f64 v[8:9], v[8:9], v[82:83]
	v_fmac_f64_e32 v[8:9], v[10:11], v[80:81]
	s_waitcnt vmcnt(1) lgkmcnt(1)
	v_mul_f64 v[10:11], v[6:7], v[90:91]
	v_fma_f64 v[10:11], v[4:5], v[88:89], -v[10:11]
	v_mul_f64 v[4:5], v[4:5], v[90:91]
	v_fmac_f64_e32 v[4:5], v[6:7], v[88:89]
	;; [unrolled: 5-line block ×3, first 2 shown]
	v_add_f64 v[2:3], v[144:145], v[16:17]
	v_add_f64 v[140:141], v[2:3], v[20:21]
	;; [unrolled: 1-line block ×5, first 2 shown]
	v_fmac_f64_e32 v[146:147], -0.5, v[2:3]
	v_add_f64 v[2:3], v[16:17], -v[20:21]
	v_fma_f64 v[150:151], s[12:13], v[2:3], v[146:147]
	v_fmac_f64_e32 v[146:147], s[2:3], v[2:3]
	v_add_f64 v[2:3], v[152:153], v[24:25]
	v_add_f64 v[156:157], v[2:3], v[28:29]
	;; [unrolled: 1-line block ×5, first 2 shown]
	v_fmac_f64_e32 v[154:155], -0.5, v[2:3]
	v_add_f64 v[2:3], v[24:25], -v[28:29]
	v_fma_f64 v[162:163], s[12:13], v[2:3], v[154:155]
	v_fmac_f64_e32 v[154:155], s[2:3], v[2:3]
	v_add_f64 v[2:3], v[164:165], v[14:15]
	v_add_f64 v[168:169], v[2:3], v[32:33]
	;; [unrolled: 1-line block ×7, first 2 shown]
	v_fmac_f64_e32 v[166:167], -0.5, v[2:3]
	v_add_f64 v[2:3], v[14:15], -v[32:33]
	v_fmac_f64_e32 v[152:153], -0.5, v[16:17]
	v_add_f64 v[16:17], v[26:27], -v[12:13]
	v_add_f64 v[12:13], v[14:15], v[32:33]
	v_fma_f64 v[174:175], s[12:13], v[2:3], v[166:167]
	v_fmac_f64_e32 v[166:167], s[2:3], v[2:3]
	v_add_f64 v[2:3], v[176:177], v[10:11]
	v_fmac_f64_e32 v[164:165], -0.5, v[12:13]
	v_add_f64 v[12:13], v[30:31], -v[8:9]
	v_add_f64 v[8:9], v[10:11], v[6:7]
	v_add_f64 v[180:181], v[2:3], v[6:7]
	;; [unrolled: 1-line block ×3, first 2 shown]
	v_fmac_f64_e32 v[176:177], -0.5, v[8:9]
	v_add_f64 v[8:9], v[4:5], -v[0:1]
	v_add_f64 v[182:183], v[2:3], v[0:1]
	v_add_f64 v[0:1], v[4:5], v[0:1]
	v_fmac_f64_e32 v[144:145], -0.5, v[34:35]
	v_add_f64 v[34:35], v[18:19], -v[22:23]
	v_fmac_f64_e32 v[178:179], -0.5, v[0:1]
	v_add_f64 v[0:1], v[10:11], -v[6:7]
	v_fma_f64 v[148:149], s[2:3], v[34:35], v[144:145]
	v_fma_f64 v[160:161], s[2:3], v[16:17], v[152:153]
	;; [unrolled: 1-line block ×5, first 2 shown]
	v_fmac_f64_e32 v[178:179], s[2:3], v[0:1]
	s_load_dwordx2 s[2:3], s[0:1], 0x38
	v_lshrrev_b32_e32 v0, 2, v234
	v_lshrrev_b32_e32 v1, 2, v204
	;; [unrolled: 1-line block ×4, first 2 shown]
	v_mul_u32_u24_e32 v0, 12, v0
	v_mul_u32_u24_e32 v1, 12, v1
	;; [unrolled: 1-line block ×4, first 2 shown]
	v_or_b32_e32 v0, v0, v36
	v_or_b32_e32 v1, v1, v37
	;; [unrolled: 1-line block ×4, first 2 shown]
	s_movk_i32 s0, 0x6c
	v_fmac_f64_e32 v[144:145], s[12:13], v[34:35]
	v_fmac_f64_e32 v[152:153], s[12:13], v[16:17]
	;; [unrolled: 1-line block ×4, first 2 shown]
	v_lshlrev_b32_e32 v233, 4, v0
	v_lshlrev_b32_e32 v118, 4, v1
	;; [unrolled: 1-line block ×4, first 2 shown]
	v_cmp_gt_u16_e32 vcc, s0, v234
	s_waitcnt lgkmcnt(0)
	s_barrier
	ds_write_b128 v233, v[140:143]
	ds_write_b128 v233, v[148:151] offset:64
	ds_write_b128 v233, v[144:147] offset:128
	ds_write_b128 v118, v[156:159]
	ds_write_b128 v118, v[160:163] offset:64
	ds_write_b128 v118, v[152:155] offset:128
	;; [unrolled: 3-line block ×4, first 2 shown]
	s_waitcnt lgkmcnt(0)
	s_barrier
	s_and_saveexec_b64 s[0:1], vcc
	s_cbranch_execz .LBB0_3
; %bb.2:
	ds_read_b128 v[140:143], v232
	ds_read_b128 v[148:151], v232 offset:1728
	ds_read_b128 v[144:147], v232 offset:3456
	;; [unrolled: 1-line block ×12, first 2 shown]
.LBB0_3:
	s_or_b64 exec, exec, s[0:1]
	s_movk_i32 s0, 0xab
	v_mul_lo_u16_sdwa v0, v234, s0 dst_sel:DWORD dst_unused:UNUSED_PAD src0_sel:BYTE_0 src1_sel:DWORD
	v_lshrrev_b16_e32 v0, 11, v0
	v_accvgpr_write_b32 a21, v0
	v_mul_lo_u16_e32 v0, 12, v0
	v_sub_u16_e32 v0, v234, v0
	v_and_b32_e32 v2, 0xff, v0
	s_movk_i32 s0, 0xc0
	v_mov_b64_e32 v[0:1], s[10:11]
	v_mad_u64_u32 v[0:1], s[0:1], v2, s0, v[0:1]
	global_load_dwordx4 v[24:27], v[0:1], off offset:160
	global_load_dwordx4 v[112:115], v[0:1], off offset:176
	;; [unrolled: 1-line block ×12, first 2 shown]
	s_mov_b32 s18, 0x4267c47c
	v_accvgpr_write_b32 a50, v2
	s_mov_b32 s0, 0xe00740e9
	s_mov_b32 s19, 0xbfddbe06
	;; [unrolled: 1-line block ×23, first 2 shown]
	v_mov_b32_e32 v249, 0
	s_waitcnt lgkmcnt(0)
	s_barrier
	s_waitcnt vmcnt(11)
	v_mul_f64 v[192:193], v[148:149], v[26:27]
	v_mul_f64 v[0:1], v[150:151], v[26:27]
	s_waitcnt vmcnt(10)
	v_mul_f64 v[194:195], v[144:145], v[114:115]
	s_waitcnt vmcnt(9)
	v_mul_f64 v[4:5], v[158:159], v[126:127]
	v_fmac_f64_e32 v[192:193], v[150:151], v[24:25]
	v_mul_f64 v[2:3], v[146:147], v[114:115]
	s_waitcnt vmcnt(8)
	v_mul_f64 v[6:7], v[162:163], v[30:31]
	v_fma_f64 v[218:219], v[148:149], v[24:25], -v[0:1]
	s_waitcnt vmcnt(3)
	v_mul_f64 v[216:217], v[180:181], v[138:139]
	v_fmac_f64_e32 v[194:195], v[146:147], v[112:113]
	s_waitcnt vmcnt(1)
	v_mul_f64 v[224:225], v[176:177], v[38:39]
	s_waitcnt vmcnt(0)
	v_mul_f64 v[228:229], v[188:189], v[34:35]
	v_mul_f64 v[22:23], v[190:191], v[34:35]
	v_fmac_f64_e32 v[228:229], v[190:191], v[32:33]
	v_mul_f64 v[20:21], v[178:179], v[38:39]
	v_fma_f64 v[226:227], v[156:157], v[124:125], -v[4:5]
	v_fmac_f64_e32 v[224:225], v[178:179], v[36:37]
	v_fma_f64 v[178:179], v[188:189], v[32:33], -v[22:23]
	v_add_f64 v[4:5], v[192:193], -v[228:229]
	v_mul_f64 v[196:197], v[156:157], v[126:127]
	v_mul_f64 v[210:211], v[168:169], v[134:135]
	;; [unrolled: 1-line block ×8, first 2 shown]
	v_fma_f64 v[222:223], v[144:145], v[112:113], -v[2:3]
	v_fma_f64 v[230:231], v[160:161], v[28:29], -v[6:7]
	v_fmac_f64_e32 v[216:217], v[182:183], v[136:137]
	v_fma_f64 v[176:177], v[176:177], v[36:37], -v[20:21]
	v_add_f64 v[188:189], v[218:219], v[178:179]
	v_add_f64 v[252:253], v[218:219], -v[178:179]
	v_add_f64 v[6:7], v[194:195], -v[224:225]
	v_mul_f64 v[182:183], v[4:5], s[18:19]
	v_mul_f64 v[8:9], v[154:155], v[122:123]
	;; [unrolled: 1-line block ×3, first 2 shown]
	v_fmac_f64_e32 v[196:197], v[158:159], v[124:125]
	v_fmac_f64_e32 v[210:211], v[170:171], v[132:133]
	v_fma_f64 v[170:171], v[172:173], v[128:129], -v[12:13]
	v_fmac_f64_e32 v[212:213], v[174:175], v[128:129]
	v_fma_f64 v[172:173], v[164:165], v[40:41], -v[14:15]
	v_fma_f64 v[174:175], v[180:181], v[136:137], -v[16:17]
	;; [unrolled: 1-line block ×3, first 2 shown]
	v_fmac_f64_e32 v[220:221], v[186:187], v[44:45]
	v_add_f64 v[14:15], v[192:193], v[228:229]
	v_add_f64 v[190:191], v[222:223], v[176:177]
	v_add_f64 v[242:243], v[222:223], -v[176:177]
	v_mul_f64 v[184:185], v[252:253], s[18:19]
	v_fma_f64 v[0:1], s[0:1], v[188:189], v[182:183]
	v_mul_f64 v[186:187], v[6:7], s[14:15]
	v_fma_f64 v[246:247], v[152:153], v[120:121], -v[8:9]
	v_add_f64 v[18:19], v[194:195], v[224:225]
	v_fma_f64 v[2:3], v[14:15], s[0:1], -v[184:185]
	v_add_f64 v[0:1], v[140:141], v[0:1]
	v_mul_f64 v[250:251], v[242:243], s[14:15]
	v_fma_f64 v[8:9], s[12:13], v[190:191], v[186:187]
	v_add_f64 v[20:21], v[196:197], -v[220:221]
	v_mul_f64 v[198:199], v[160:161], v[30:31]
	v_accvgpr_write_b32 a75, v31
	v_fma_f64 v[168:169], v[168:169], v[132:133], -v[10:11]
	v_add_f64 v[2:3], v[142:143], v[2:3]
	v_add_f64 v[10:11], v[8:9], v[0:1]
	v_fma_f64 v[0:1], v[18:19], s[12:13], -v[250:251]
	v_add_f64 v[244:245], v[226:227], v[180:181]
	v_add_f64 v[8:9], v[226:227], -v[180:181]
	v_mul_f64 v[254:255], v[20:21], s[30:31]
	v_accvgpr_write_b32 a74, v30
	v_accvgpr_write_b32 a73, v29
	;; [unrolled: 1-line block ×3, first 2 shown]
	v_fmac_f64_e32 v[198:199], v[162:163], v[28:29]
	v_accvgpr_write_b32 a81, v35
	v_add_f64 v[2:3], v[0:1], v[2:3]
	v_add_f64 v[30:31], v[196:197], v[220:221]
	v_mul_f64 v[0:1], v[8:9], s[30:31]
	v_fma_f64 v[12:13], s[20:21], v[244:245], v[254:255]
	v_accvgpr_write_b32 a63, v27
	v_accvgpr_write_b32 a80, v34
	;; [unrolled: 1-line block ×4, first 2 shown]
	v_add_f64 v[16:17], v[12:13], v[10:11]
	v_fma_f64 v[10:11], v[30:31], s[20:21], -v[0:1]
	v_add_f64 v[32:33], v[198:199], -v[216:217]
	v_mul_f64 v[208:209], v[152:153], v[122:123]
	v_mul_f64 v[214:215], v[164:165], v[42:43]
	v_accvgpr_write_b32 a62, v26
	v_accvgpr_write_b32 a61, v25
	;; [unrolled: 1-line block ×4, first 2 shown]
	v_add_f64 v[24:25], v[10:11], v[2:3]
	v_add_f64 v[10:11], v[230:231], v[174:175]
	v_add_f64 v[22:23], v[230:231], -v[174:175]
	v_mul_f64 v[2:3], v[32:33], s[24:25]
	v_fmac_f64_e32 v[208:209], v[154:155], v[120:121]
	v_accvgpr_write_b32 a94, v42
	v_accvgpr_write_b32 a93, v41
	;; [unrolled: 1-line block ×3, first 2 shown]
	v_fmac_f64_e32 v[214:215], v[166:167], v[40:41]
	v_accvgpr_write_b32 a99, v47
	v_add_f64 v[40:41], v[198:199], v[216:217]
	v_mul_f64 v[12:13], v[22:23], s[24:25]
	v_fma_f64 v[26:27], s[22:23], v[10:11], v[2:3]
	v_accvgpr_write_b32 a98, v46
	v_accvgpr_write_b32 a97, v45
	;; [unrolled: 1-line block ×4, first 2 shown]
	v_add_f64 v[28:29], v[26:27], v[16:17]
	v_fma_f64 v[16:17], v[40:41], s[22:23], -v[12:13]
	v_add_f64 v[44:45], v[208:209], -v[214:215]
	v_accvgpr_write_b32 a86, v38
	v_accvgpr_write_b32 a85, v37
	;; [unrolled: 1-line block ×3, first 2 shown]
	v_add_f64 v[36:37], v[16:17], v[24:25]
	v_add_f64 v[24:25], v[246:247], v[172:173]
	v_add_f64 v[34:35], v[246:247], -v[172:173]
	v_mul_f64 v[16:17], v[44:45], s[36:37]
	v_add_f64 v[42:43], v[208:209], v[214:215]
	v_mul_f64 v[26:27], v[34:35], s[36:37]
	v_fma_f64 v[38:39], s[26:27], v[24:25], v[16:17]
	v_add_f64 v[84:85], v[38:39], v[28:29]
	v_fma_f64 v[28:29], v[42:43], s[26:27], -v[26:27]
	v_add_f64 v[164:165], v[210:211], -v[212:213]
	v_add_f64 v[86:87], v[28:29], v[36:37]
	v_add_f64 v[36:37], v[168:169], v[170:171]
	v_add_f64 v[46:47], v[168:169], -v[170:171]
	v_mul_f64 v[28:29], v[164:165], s[34:35]
	v_add_f64 v[166:167], v[210:211], v[212:213]
	v_mul_f64 v[38:39], v[46:47], s[34:35]
	v_fma_f64 v[96:97], s[28:29], v[36:37], v[28:29]
	v_add_f64 v[144:145], v[96:97], v[84:85]
	v_fma_f64 v[84:85], v[166:167], s[28:29], -v[38:39]
	v_add_f64 v[146:147], v[84:85], v[86:87]
	v_accvgpr_write_b32 a104, v144
	v_accvgpr_write_b32 a105, v145
	;; [unrolled: 1-line block ×4, first 2 shown]
	s_and_saveexec_b64 s[16:17], vcc
	s_cbranch_execz .LBB0_5
; %bb.4:
	v_mul_f64 v[84:85], v[188:189], s[0:1]
	v_accvgpr_write_b32 a109, v85
	v_accvgpr_write_b32 a108, v84
	v_mul_f64 v[84:85], v[14:15], s[0:1]
	v_accvgpr_write_b32 a119, v85
	v_accvgpr_write_b32 a118, v84
	;; [unrolled: 3-line block ×9, first 2 shown]
	v_mul_f64 v[84:85], v[42:43], s[26:27]
	v_accvgpr_write_b32 a129, v85
	v_mul_f64 v[152:153], v[14:15], s[28:29]
	s_mov_b32 s47, 0x3fcea1e5
	s_mov_b32 s46, s34
	v_accvgpr_write_b32 a128, v84
	v_mul_f64 v[84:85], v[36:37], s[28:29]
	v_mul_f64 v[150:151], v[18:19], s[0:1]
	v_fma_f64 v[154:155], s[46:47], v[252:253], v[152:153]
	v_accvgpr_write_b32 a54, v104
	v_accvgpr_write_b32 a121, v85
	v_mul_f64 v[148:149], v[30:31], s[26:27]
	s_mov_b32 s39, 0x3fe5384d
	s_mov_b32 s38, s36
	v_fma_f64 v[146:147], s[18:19], v[242:243], v[150:151]
	v_add_f64 v[154:155], v[142:143], v[154:155]
	s_mov_b32 s45, 0x3fddbe06
	s_mov_b32 s44, s18
	v_accvgpr_write_b32 a55, v105
	v_mul_f64 v[104:105], v[4:5], s[34:35]
	v_accvgpr_write_b32 a120, v84
	v_mul_f64 v[84:85], v[166:167], s[28:29]
	v_mov_b32_e32 v207, v100
	v_mov_b32_e32 v241, v101
	v_mul_f64 v[100:101], v[40:41], s[12:13]
	v_accvgpr_write_b32 a52, v102
	v_fma_f64 v[144:145], s[38:39], v[8:9], v[148:149]
	v_add_f64 v[146:147], v[146:147], v[154:155]
	v_mul_f64 v[162:163], v[6:7], s[44:45]
	v_mov_b32_e32 v248, v106
	v_accvgpr_write_b32 a51, v107
	v_fma_f64 v[106:107], s[28:29], v[188:189], v[104:105]
	v_accvgpr_write_b32 a131, v85
	v_mul_f64 v[96:97], v[42:43], s[22:23]
	s_mov_b32 s43, 0x3fedeba7
	s_mov_b32 s42, s24
	v_accvgpr_write_b32 a53, v103
	v_fma_f64 v[102:103], s[14:15], v[22:23], v[100:101]
	v_add_f64 v[144:145], v[144:145], v[146:147]
	s_mov_b32 s49, 0x3fea55e2
	s_mov_b32 s48, s14
	v_mul_f64 v[158:159], v[20:21], s[36:37]
	v_fma_f64 v[236:237], s[0:1], v[190:191], v[162:163]
	v_add_f64 v[106:107], v[140:141], v[106:107]
	v_accvgpr_write_b32 a130, v84
	v_mul_f64 v[84:85], v[166:167], s[20:21]
	v_mov_b32_e32 v201, v98
	v_mov_b32_e32 v203, v99
	v_fma_f64 v[98:99], s[42:43], v[34:35], v[96:97]
	v_add_f64 v[102:103], v[102:103], v[144:145]
	v_mul_f64 v[154:155], v[32:33], s[48:49]
	v_fma_f64 v[160:161], s[26:27], v[244:245], v[158:159]
	v_add_f64 v[106:107], v[236:237], v[106:107]
	v_fma_f64 v[86:87], s[30:31], v[46:47], v[84:85]
	v_add_f64 v[98:99], v[98:99], v[102:103]
	s_mov_b32 s41, 0x3fefc445
	s_mov_b32 s40, s30
	v_mul_f64 v[102:103], v[44:45], s[24:25]
	v_fma_f64 v[156:157], s[12:13], v[10:11], v[154:155]
	v_add_f64 v[106:107], v[160:161], v[106:107]
	v_add_f64 v[146:147], v[86:87], v[98:99]
	v_mul_f64 v[86:87], v[164:165], s[40:41]
	v_fma_f64 v[144:145], s[22:23], v[24:25], v[102:103]
	v_add_f64 v[106:107], v[156:157], v[106:107]
	v_fma_f64 v[98:99], s[20:21], v[36:37], v[86:87]
	v_add_f64 v[106:107], v[144:145], v[106:107]
	v_fmac_f64_e32 v[152:153], s[34:35], v[252:253]
	v_add_f64 v[144:145], v[98:99], v[106:107]
	v_fmac_f64_e32 v[150:151], s[44:45], v[242:243]
	;; [unrolled: 2-line block ×6, first 2 shown]
	v_add_f64 v[96:97], v[96:97], v[98:99]
	v_add_f64 v[150:151], v[84:85], v[96:97]
	v_fma_f64 v[84:85], v[36:37], s[20:21], -v[86:87]
	v_fma_f64 v[86:87], v[24:25], s[22:23], -v[102:103]
	;; [unrolled: 1-line block ×5, first 2 shown]
	v_add_f64 v[102:103], v[140:141], v[102:103]
	v_mul_f64 v[158:159], v[14:15], s[26:27]
	v_fma_f64 v[96:97], v[10:11], s[12:13], -v[154:155]
	v_add_f64 v[100:101], v[100:101], v[102:103]
	v_mul_f64 v[156:157], v[18:19], s[20:21]
	v_fma_f64 v[154:155], s[38:39], v[252:253], v[158:159]
	v_accvgpr_write_b32 a64, v112
	v_add_f64 v[98:99], v[98:99], v[100:101]
	v_mul_f64 v[104:105], v[30:31], s[12:13]
	v_fma_f64 v[152:153], s[30:31], v[242:243], v[156:157]
	v_add_f64 v[154:155], v[142:143], v[154:155]
	v_accvgpr_write_b32 a65, v113
	v_accvgpr_write_b32 a66, v114
	;; [unrolled: 1-line block ×3, first 2 shown]
	v_mul_f64 v[112:113], v[4:5], s[36:37]
	v_add_f64 v[96:97], v[96:97], v[98:99]
	v_mul_f64 v[100:101], v[40:41], s[28:29]
	v_fma_f64 v[106:107], s[48:49], v[8:9], v[104:105]
	v_add_f64 v[152:153], v[152:153], v[154:155]
	v_accvgpr_write_b32 a56, v108
	v_accvgpr_write_b32 a57, v109
	v_mul_f64 v[108:109], v[6:7], s[40:41]
	v_fma_f64 v[114:115], s[26:27], v[188:189], v[112:113]
	v_add_f64 v[86:87], v[86:87], v[96:97]
	v_mul_f64 v[96:97], v[42:43], s[0:1]
	v_fma_f64 v[102:103], s[34:35], v[22:23], v[100:101]
	v_add_f64 v[106:107], v[106:107], v[152:153]
	v_mul_f64 v[162:163], v[20:21], s[14:15]
	v_accvgpr_write_b32 a58, v110
	v_accvgpr_write_b32 a59, v111
	v_fma_f64 v[110:111], s[20:21], v[190:191], v[108:109]
	v_add_f64 v[114:115], v[140:141], v[114:115]
	v_add_f64 v[148:149], v[84:85], v[86:87]
	v_mul_f64 v[84:85], v[166:167], s[22:23]
	v_fma_f64 v[98:99], s[18:19], v[34:35], v[96:97]
	v_add_f64 v[102:103], v[102:103], v[106:107]
	v_mul_f64 v[160:161], v[32:33], s[46:47]
	v_fma_f64 v[236:237], s[12:13], v[244:245], v[162:163]
	v_add_f64 v[110:111], v[110:111], v[114:115]
	v_fma_f64 v[86:87], s[42:43], v[46:47], v[84:85]
	v_add_f64 v[98:99], v[98:99], v[102:103]
	v_mul_f64 v[102:103], v[44:45], s[44:45]
	v_fma_f64 v[152:153], s[28:29], v[10:11], v[160:161]
	v_add_f64 v[110:111], v[236:237], v[110:111]
	v_add_f64 v[154:155], v[86:87], v[98:99]
	v_mul_f64 v[86:87], v[164:165], s[24:25]
	v_fma_f64 v[106:107], s[0:1], v[24:25], v[102:103]
	v_add_f64 v[110:111], v[152:153], v[110:111]
	v_fma_f64 v[98:99], s[22:23], v[36:37], v[86:87]
	v_add_f64 v[106:107], v[106:107], v[110:111]
	v_fmac_f64_e32 v[158:159], s[36:37], v[252:253]
	v_add_f64 v[152:153], v[98:99], v[106:107]
	v_fmac_f64_e32 v[156:157], s[40:41], v[242:243]
	;; [unrolled: 2-line block ×6, first 2 shown]
	v_add_f64 v[96:97], v[96:97], v[98:99]
	v_add_f64 v[158:159], v[84:85], v[96:97]
	v_fma_f64 v[84:85], v[36:37], s[22:23], -v[86:87]
	v_fma_f64 v[86:87], v[24:25], s[0:1], -v[102:103]
	;; [unrolled: 1-line block ×4, first 2 shown]
	v_add_f64 v[102:103], v[140:141], v[102:103]
	v_mul_f64 v[112:113], v[14:15], s[22:23]
	v_fma_f64 v[98:99], v[244:245], s[12:13], -v[162:163]
	v_add_f64 v[100:101], v[100:101], v[102:103]
	v_mul_f64 v[108:109], v[18:19], s[26:27]
	v_fma_f64 v[114:115], s[42:43], v[252:253], v[112:113]
	v_accvgpr_write_b32 a88, v120
	v_fma_f64 v[96:97], v[10:11], s[28:29], -v[160:161]
	v_add_f64 v[98:99], v[98:99], v[100:101]
	v_mul_f64 v[104:105], v[30:31], s[0:1]
	v_fma_f64 v[110:111], s[36:37], v[242:243], v[108:109]
	v_add_f64 v[114:115], v[142:143], v[114:115]
	v_accvgpr_write_b32 a89, v121
	v_accvgpr_write_b32 a90, v122
	;; [unrolled: 1-line block ×3, first 2 shown]
	v_mul_f64 v[120:121], v[4:5], s[24:25]
	v_add_f64 v[96:97], v[96:97], v[98:99]
	v_mul_f64 v[100:101], v[40:41], s[20:21]
	v_fma_f64 v[106:107], s[18:19], v[8:9], v[104:105]
	v_add_f64 v[110:111], v[110:111], v[114:115]
	v_accvgpr_write_b32 a76, v116
	v_accvgpr_write_b32 a77, v117
	v_mul_f64 v[116:117], v[6:7], s[38:39]
	v_fma_f64 v[122:123], s[22:23], v[188:189], v[120:121]
	v_add_f64 v[86:87], v[86:87], v[96:97]
	v_mul_f64 v[96:97], v[42:43], s[28:29]
	v_fma_f64 v[102:103], s[40:41], v[22:23], v[100:101]
	v_add_f64 v[106:107], v[106:107], v[110:111]
	v_mul_f64 v[236:237], v[20:21], s[44:45]
	v_accvgpr_write_b32 a82, v118
	v_fma_f64 v[118:119], s[26:27], v[190:191], v[116:117]
	v_add_f64 v[122:123], v[140:141], v[122:123]
	v_add_f64 v[156:157], v[84:85], v[86:87]
	v_mul_f64 v[84:85], v[166:167], s[12:13]
	v_fma_f64 v[98:99], s[34:35], v[34:35], v[96:97]
	v_add_f64 v[102:103], v[102:103], v[106:107]
	v_mul_f64 v[110:111], v[32:33], s[30:31]
	v_fma_f64 v[160:161], s[0:1], v[244:245], v[236:237]
	v_add_f64 v[118:119], v[118:119], v[122:123]
	v_fma_f64 v[86:87], s[14:15], v[46:47], v[84:85]
	v_add_f64 v[98:99], v[98:99], v[102:103]
	v_mul_f64 v[102:103], v[44:45], s[46:47]
	v_fma_f64 v[114:115], s[20:21], v[10:11], v[110:111]
	v_add_f64 v[118:119], v[160:161], v[118:119]
	v_add_f64 v[162:163], v[86:87], v[98:99]
	v_mul_f64 v[98:99], v[164:165], s[48:49]
	v_fma_f64 v[106:107], s[28:29], v[24:25], v[102:103]
	v_add_f64 v[114:115], v[114:115], v[118:119]
	v_fma_f64 v[86:87], s[12:13], v[36:37], v[98:99]
	v_add_f64 v[106:107], v[106:107], v[114:115]
	v_fmac_f64_e32 v[112:113], s[24:25], v[252:253]
	v_add_f64 v[160:161], v[86:87], v[106:107]
	v_fmac_f64_e32 v[108:109], s[38:39], v[242:243]
	;; [unrolled: 2-line block ×5, first 2 shown]
	v_add_f64 v[86:87], v[100:101], v[86:87]
	v_add_f64 v[86:87], v[96:97], v[86:87]
	v_fma_f64 v[96:97], v[24:25], s[28:29], -v[102:103]
	v_fma_f64 v[102:103], v[190:191], s[26:27], -v[116:117]
	;; [unrolled: 1-line block ×3, first 2 shown]
	v_mul_f64 v[116:117], v[14:15], s[20:21]
	v_accvgpr_write_b32 a100, v128
	v_add_f64 v[104:105], v[140:141], v[104:105]
	v_mul_f64 v[112:113], v[18:19], s[28:29]
	v_fma_f64 v[118:119], s[40:41], v[252:253], v[116:117]
	v_accvgpr_write_b32 a68, v124
	v_accvgpr_write_b32 a101, v129
	;; [unrolled: 1-line block ×4, first 2 shown]
	v_mul_f64 v[128:129], v[4:5], s[30:31]
	v_fmac_f64_e32 v[84:85], s[48:49], v[46:47]
	v_fma_f64 v[100:101], v[244:245], s[0:1], -v[236:237]
	v_add_f64 v[102:103], v[102:103], v[104:105]
	v_mul_f64 v[108:109], v[30:31], s[22:23]
	v_fma_f64 v[114:115], s[46:47], v[242:243], v[112:113]
	v_add_f64 v[118:119], v[142:143], v[118:119]
	v_accvgpr_write_b32 a69, v125
	v_accvgpr_write_b32 a70, v126
	;; [unrolled: 1-line block ×3, first 2 shown]
	v_mul_f64 v[124:125], v[6:7], s[34:35]
	v_fma_f64 v[130:131], s[20:21], v[188:189], v[128:129]
	v_add_f64 v[86:87], v[84:85], v[86:87]
	v_fma_f64 v[84:85], v[36:37], s[12:13], -v[98:99]
	v_fma_f64 v[98:99], v[10:11], s[20:21], -v[110:111]
	v_add_f64 v[100:101], v[100:101], v[102:103]
	v_mul_f64 v[104:105], v[40:41], s[0:1]
	v_fma_f64 v[110:111], s[24:25], v[8:9], v[108:109]
	v_add_f64 v[114:115], v[114:115], v[118:119]
	v_mul_f64 v[122:123], v[20:21], s[42:43]
	v_fma_f64 v[126:127], s[28:29], v[190:191], v[124:125]
	v_add_f64 v[130:131], v[140:141], v[130:131]
	v_add_f64 v[98:99], v[98:99], v[100:101]
	v_mul_f64 v[102:103], v[42:43], s[12:13]
	v_fma_f64 v[106:107], s[18:19], v[22:23], v[104:105]
	v_add_f64 v[110:111], v[110:111], v[114:115]
	v_mul_f64 v[118:119], v[32:33], s[44:45]
	v_fma_f64 v[236:237], s[22:23], v[244:245], v[122:123]
	v_add_f64 v[126:127], v[126:127], v[130:131]
	;; [unrolled: 7-line block ×3, first 2 shown]
	v_add_f64 v[84:85], v[84:85], v[96:97]
	v_fma_f64 v[96:97], s[38:39], v[46:47], v[100:101]
	v_add_f64 v[98:99], v[98:99], v[106:107]
	v_mul_f64 v[106:107], v[164:165], s[36:37]
	v_fma_f64 v[114:115], s[12:13], v[24:25], v[110:111]
	v_add_f64 v[120:121], v[120:121], v[126:127]
	v_add_f64 v[98:99], v[96:97], v[98:99]
	v_fma_f64 v[96:97], s[26:27], v[36:37], v[106:107]
	v_add_f64 v[114:115], v[114:115], v[120:121]
	v_fmac_f64_e32 v[116:117], s[30:31], v[252:253]
	v_add_f64 v[96:97], v[96:97], v[114:115]
	v_fmac_f64_e32 v[112:113], s[34:35], v[242:243]
	v_add_f64 v[114:115], v[142:143], v[116:117]
	v_fmac_f64_e32 v[108:109], s[42:43], v[8:9]
	v_add_f64 v[112:113], v[112:113], v[114:115]
	v_fmac_f64_e32 v[104:105], s[44:45], v[22:23]
	v_add_f64 v[108:109], v[108:109], v[112:113]
	v_fmac_f64_e32 v[102:103], s[14:15], v[34:35]
	v_add_f64 v[104:105], v[104:105], v[108:109]
	v_fma_f64 v[112:113], v[188:189], s[20:21], -v[128:129]
	v_add_f64 v[102:103], v[102:103], v[104:105]
	v_fma_f64 v[104:105], v[24:25], s[12:13], -v[110:111]
	v_fma_f64 v[110:111], v[190:191], s[28:29], -v[124:125]
	v_add_f64 v[112:113], v[140:141], v[112:113]
	v_mul_f64 v[14:15], v[14:15], s[12:13]
	v_fmac_f64_e32 v[100:101], s[36:37], v[46:47]
	v_fma_f64 v[108:109], v[244:245], s[22:23], -v[122:123]
	v_add_f64 v[110:111], v[110:111], v[112:113]
	v_mul_f64 v[18:19], v[18:19], s[22:23]
	v_fma_f64 v[116:117], s[48:49], v[252:253], v[14:15]
	v_add_f64 v[102:103], v[100:101], v[102:103]
	v_fma_f64 v[100:101], v[36:37], s[26:27], -v[106:107]
	v_fma_f64 v[106:107], v[10:11], s[0:1], -v[118:119]
	v_add_f64 v[108:109], v[108:109], v[110:111]
	v_mul_f64 v[30:31], v[30:31], s[28:29]
	v_fma_f64 v[114:115], s[42:43], v[242:243], v[18:19]
	v_add_f64 v[116:117], v[142:143], v[116:117]
	v_mul_f64 v[4:5], v[4:5], s[14:15]
	v_add_f64 v[106:107], v[106:107], v[108:109]
	v_mul_f64 v[110:111], v[40:41], s[26:27]
	v_fma_f64 v[112:113], s[46:47], v[8:9], v[30:31]
	v_add_f64 v[114:115], v[114:115], v[116:117]
	v_mul_f64 v[118:119], v[6:7], s[24:25]
	v_fma_f64 v[120:121], s[12:13], v[188:189], v[4:5]
	;; [unrolled: 3-line block ×4, first 2 shown]
	v_add_f64 v[120:121], v[140:141], v[120:121]
	v_add_f64 v[100:101], v[100:101], v[104:105]
	v_mul_f64 v[104:105], v[166:167], s[0:1]
	v_fma_f64 v[42:43], s[30:31], v[34:35], v[108:109]
	v_add_f64 v[40:41], v[40:41], v[112:113]
	v_mul_f64 v[32:33], v[32:33], s[38:39]
	v_fma_f64 v[116:117], s[28:29], v[244:245], v[20:21]
	v_add_f64 v[6:7], v[6:7], v[120:121]
	v_fma_f64 v[106:107], s[18:19], v[46:47], v[104:105]
	v_add_f64 v[40:41], v[42:43], v[40:41]
	v_mul_f64 v[44:45], v[44:45], s[40:41]
	v_fma_f64 v[114:115], s[26:27], v[10:11], v[32:33]
	v_add_f64 v[6:7], v[116:117], v[6:7]
	v_add_f64 v[42:43], v[106:107], v[40:41]
	v_mul_f64 v[106:107], v[164:165], s[44:45]
	v_fma_f64 v[112:113], s[20:21], v[24:25], v[44:45]
	v_add_f64 v[6:7], v[114:115], v[6:7]
	v_fma_f64 v[40:41], s[0:1], v[36:37], v[106:107]
	v_add_f64 v[6:7], v[112:113], v[6:7]
	v_fmac_f64_e32 v[14:15], s[14:15], v[252:253]
	v_add_f64 v[40:41], v[40:41], v[6:7]
	v_fmac_f64_e32 v[18:19], s[24:25], v[242:243]
	v_add_f64 v[6:7], v[142:143], v[14:15]
	v_fma_f64 v[4:5], v[188:189], s[12:13], -v[4:5]
	v_add_f64 v[6:7], v[18:19], v[6:7]
	v_fma_f64 v[18:19], v[244:245], s[28:29], -v[20:21]
	v_fma_f64 v[20:21], v[190:191], s[22:23], -v[118:119]
	v_add_f64 v[4:5], v[140:141], v[4:5]
	v_add_f64 v[4:5], v[20:21], v[4:5]
	v_fma_f64 v[10:11], v[10:11], s[26:27], -v[32:33]
	v_add_f64 v[4:5], v[18:19], v[4:5]
	v_fma_f64 v[14:15], v[24:25], s[20:21], -v[44:45]
	v_add_f64 v[4:5], v[10:11], v[4:5]
	v_add_f64 v[4:5], v[14:15], v[4:5]
	v_accvgpr_read_b32 v14, a126
	v_accvgpr_read_b32 v15, a127
	v_add_f64 v[12:13], v[12:13], v[14:15]
	v_accvgpr_read_b32 v14, a124
	v_accvgpr_read_b32 v15, a125
	v_accvgpr_read_b32 v18, a118
	v_add_f64 v[0:1], v[0:1], v[14:15]
	v_accvgpr_read_b32 v14, a122
	v_accvgpr_read_b32 v19, a119
	;; [unrolled: 1-line block ×3, first 2 shown]
	v_add_f64 v[18:19], v[184:185], v[18:19]
	v_add_f64 v[14:15], v[250:251], v[14:15]
	;; [unrolled: 1-line block ×3, first 2 shown]
	v_fmac_f64_e32 v[30:31], s[34:35], v[8:9]
	v_fma_f64 v[8:9], v[36:37], s[0:1], -v[106:107]
	v_accvgpr_read_b32 v10, a128
	v_add_f64 v[14:15], v[14:15], v[18:19]
	v_add_f64 v[4:5], v[8:9], v[4:5]
	v_accvgpr_read_b32 v8, a130
	v_accvgpr_read_b32 v11, a129
	v_add_f64 v[0:1], v[0:1], v[14:15]
	v_accvgpr_read_b32 v9, a131
	v_add_f64 v[10:11], v[26:27], v[10:11]
	v_add_f64 v[0:1], v[12:13], v[0:1]
	v_add_f64 v[8:9], v[38:39], v[8:9]
	v_add_f64 v[0:1], v[10:11], v[0:1]
	v_add_f64 v[10:11], v[8:9], v[0:1]
	v_accvgpr_read_b32 v8, a116
	v_accvgpr_read_b32 v9, a117
	v_add_f64 v[8:9], v[8:9], -v[16:17]
	v_accvgpr_read_b32 v12, a114
	v_accvgpr_read_b32 v16, a108
	;; [unrolled: 1-line block ×5, first 2 shown]
	v_add_f64 v[2:3], v[12:13], -v[2:3]
	v_accvgpr_read_b32 v12, a112
	v_accvgpr_read_b32 v15, a111
	v_add_f64 v[16:17], v[16:17], -v[182:183]
	v_accvgpr_read_b32 v13, a113
	v_add_f64 v[14:15], v[14:15], -v[186:187]
	v_add_f64 v[16:17], v[140:141], v[16:17]
	v_add_f64 v[12:13], v[12:13], -v[254:255]
	v_add_f64 v[14:15], v[14:15], v[16:17]
	v_accvgpr_read_b32 v0, a120
	v_add_f64 v[12:13], v[12:13], v[14:15]
	v_accvgpr_read_b32 v1, a121
	v_add_f64 v[2:3], v[2:3], v[12:13]
	v_add_f64 v[0:1], v[0:1], -v[28:29]
	v_add_f64 v[2:3], v[8:9], v[2:3]
	v_add_f64 v[8:9], v[0:1], v[2:3]
	;; [unrolled: 1-line block ×23, first 2 shown]
	v_fmac_f64_e32 v[110:111], s[38:39], v[22:23]
	v_add_f64 v[6:7], v[30:31], v[6:7]
	v_add_f64 v[0:1], v[0:1], v[180:181]
	v_accvgpr_read_b32 v12, a21
	v_fmac_f64_e32 v[108:109], s[40:41], v[34:35]
	v_add_f64 v[6:7], v[110:111], v[6:7]
	v_add_f64 v[0:1], v[0:1], v[176:177]
	v_mul_u32_u24_e32 v12, 0x9c, v12
	v_accvgpr_read_b32 v13, a50
	v_fmac_f64_e32 v[104:105], s[44:45], v[46:47]
	v_add_f64 v[6:7], v[108:109], v[6:7]
	v_add_f64 v[0:1], v[0:1], v[178:179]
	v_add_lshl_u32 v12, v12, v13, 4
	v_accvgpr_read_b32 v127, a71
	v_accvgpr_read_b32 v131, a103
	;; [unrolled: 1-line block ×4, first 2 shown]
	v_add_f64 v[6:7], v[104:105], v[6:7]
	v_accvgpr_read_b32 v105, a55
	ds_write_b128 v12, v[0:3]
	ds_write_b128 v12, v[8:11] offset:192
	ds_write_b128 v12, v[4:7] offset:384
	;; [unrolled: 1-line block ×3, first 2 shown]
	v_accvgpr_read_b32 v103, a53
	v_accvgpr_read_b32 v126, a70
	;; [unrolled: 1-line block ×21, first 2 shown]
	v_mov_b32_e32 v106, v248
	v_accvgpr_read_b32 v118, a82
	v_accvgpr_read_b32 v102, a52
	v_mov_b32_e32 v101, v241
	v_mov_b32_e32 v100, v207
	ds_write_b128 v12, v[84:87] offset:768
	ds_write_b128 v12, v[156:159] offset:960
	;; [unrolled: 1-line block ×7, first 2 shown]
	v_mov_b32_e32 v99, v203
	v_mov_b32_e32 v98, v201
	ds_write_b128 v12, v[40:43] offset:2112
	ds_write_b128 v12, a[104:107] offset:2304
.LBB0_5:
	s_or_b64 exec, exec, s[16:17]
	s_waitcnt lgkmcnt(0)
	s_barrier
	ds_read_b128 v[188:191], v232
	ds_read_b128 v[2:5], v232 offset:7488
	ds_read_b128 v[6:9], v232 offset:14976
	;; [unrolled: 1-line block ×11, first 2 shown]
	global_load_dwordx4 v[140:143], v206, s[10:11] offset:2480
	global_load_dwordx4 v[144:147], v206, s[10:11] offset:2464
	s_movk_i32 s0, 0xffd9
	s_mov_b32 s1, -1
	v_lshlrev_b32_e32 v248, 4, v234
	v_lshl_add_u64 v[246:247], s[8:9], 0, v[248:249]
	v_lshrrev_b16_e32 v24, 2, v200
	v_mul_u32_u24_e32 v24, 0xd21, v24
	v_lshrrev_b32_e32 v24, 17, v24
	v_mul_lo_u16_e32 v24, 0x9c, v24
	v_sub_u16_e32 v39, v200, v24
	s_mov_b32 s8, 0xe8584caa
	s_mov_b32 s9, 0x3febb67a
	;; [unrolled: 1-line block ×4, first 2 shown]
	s_movk_i32 s14, 0x1d4
	v_mov_b32_e32 v207, v249
	v_lshl_add_u64 v[250:251], s[10:11], 0, v[206:207]
	s_movk_i32 s16, 0x1000
	v_mov_b32_e32 v241, v249
	s_waitcnt vmcnt(0) lgkmcnt(10)
	v_mul_f64 v[0:1], v[4:5], v[146:147]
	v_fma_f64 v[0:1], v[2:3], v[144:145], -v[0:1]
	v_mul_f64 v[2:3], v[2:3], v[146:147]
	v_fmac_f64_e32 v[2:3], v[4:5], v[144:145]
	s_waitcnt lgkmcnt(9)
	v_mul_f64 v[4:5], v[8:9], v[142:143]
	v_fma_f64 v[4:5], v[6:7], v[140:141], -v[4:5]
	v_mul_f64 v[6:7], v[6:7], v[142:143]
	v_fmac_f64_e32 v[6:7], v[8:9], v[140:141]
	v_lshl_add_u64 v[8:9], v[234:235], 0, s[0:1]
	v_cmp_gt_u16_e64 s[0:1], 39, v234
	v_add_f64 v[32:33], v[188:189], v[0:1]
	v_add_f64 v[34:35], v[2:3], -v[6:7]
	v_cndmask_b32_e64 v205, v9, v205, s[0:1]
	v_cndmask_b32_e64 v204, v8, v204, s[0:1]
	v_lshlrev_b64 v[8:9], 5, v[204:205]
	v_lshl_add_u64 v[8:9], s[10:11], 0, v[8:9]
	global_load_dwordx4 v[148:151], v[8:9], off offset:2480
	global_load_dwordx4 v[152:155], v[8:9], off offset:2464
	v_cmp_lt_u16_e64 s[0:1], 38, v234
	s_waitcnt vmcnt(0) lgkmcnt(7)
	v_mul_f64 v[8:9], v[12:13], v[154:155]
	v_fma_f64 v[8:9], v[10:11], v[152:153], -v[8:9]
	v_mul_f64 v[10:11], v[10:11], v[154:155]
	v_fmac_f64_e32 v[10:11], v[12:13], v[152:153]
	s_waitcnt lgkmcnt(6)
	v_mul_f64 v[12:13], v[16:17], v[150:151]
	v_fma_f64 v[12:13], v[14:15], v[148:149], -v[12:13]
	v_mul_f64 v[14:15], v[14:15], v[150:151]
	v_fmac_f64_e32 v[14:15], v[16:17], v[148:149]
	v_lshrrev_b16_e32 v16, 2, v202
	v_mul_u32_u24_e32 v16, 0xd21, v16
	v_lshrrev_b32_e32 v37, 17, v16
	v_mul_lo_u16_e32 v16, 0x9c, v37
	v_sub_u16_e32 v38, v202, v16
	v_lshlrev_b16_e32 v248, 5, v38
	v_lshl_add_u64 v[16:17], s[10:11], 0, v[248:249]
	global_load_dwordx4 v[156:159], v[16:17], off offset:2480
	global_load_dwordx4 v[160:163], v[16:17], off offset:2464
	v_lshlrev_b16_e32 v248, 5, v39
	v_lshl_add_u64 v[24:25], s[10:11], 0, v[248:249]
	v_lshlrev_b32_e32 v248, 4, v239
	v_mov_b32_e32 v239, v249
	s_waitcnt vmcnt(1) lgkmcnt(3)
	v_mul_f64 v[20:21], v[170:171], v[158:159]
	s_waitcnt vmcnt(0)
	v_mul_f64 v[16:17], v[174:175], v[162:163]
	v_mul_f64 v[18:19], v[172:173], v[162:163]
	;; [unrolled: 1-line block ×3, first 2 shown]
	v_fma_f64 v[16:17], v[172:173], v[160:161], -v[16:17]
	v_fmac_f64_e32 v[18:19], v[174:175], v[160:161]
	v_fma_f64 v[20:21], v[168:169], v[156:157], -v[20:21]
	v_fmac_f64_e32 v[22:23], v[170:171], v[156:157]
	global_load_dwordx4 v[168:171], v[24:25], off offset:2480
	global_load_dwordx4 v[172:175], v[24:25], off offset:2464
	s_waitcnt lgkmcnt(0)
	s_barrier
	s_waitcnt vmcnt(1)
	v_mul_f64 v[28:29], v[194:195], v[170:171]
	v_fma_f64 v[28:29], v[192:193], v[168:169], -v[28:29]
	v_mul_f64 v[30:31], v[192:193], v[170:171]
	v_add_f64 v[192:193], v[32:33], v[4:5]
	v_add_f64 v[32:33], v[0:1], v[4:5]
	v_fmac_f64_e32 v[188:189], -0.5, v[32:33]
	v_fma_f64 v[32:33], s[8:9], v[34:35], v[188:189]
	v_fmac_f64_e32 v[188:189], s[12:13], v[34:35]
	v_add_f64 v[34:35], v[190:191], v[2:3]
	v_add_f64 v[2:3], v[2:3], v[6:7]
	v_fmac_f64_e32 v[190:191], -0.5, v[2:3]
	v_add_f64 v[0:1], v[0:1], -v[4:5]
	v_add_f64 v[2:3], v[8:9], v[12:13]
	v_fmac_f64_e32 v[30:31], v[194:195], v[168:169]
	v_add_f64 v[194:195], v[34:35], v[6:7]
	v_fma_f64 v[34:35], s[12:13], v[0:1], v[190:191]
	v_fmac_f64_e32 v[190:191], s[8:9], v[0:1]
	v_add_f64 v[0:1], v[184:185], v[8:9]
	v_fmac_f64_e32 v[184:185], -0.5, v[2:3]
	v_add_f64 v[2:3], v[10:11], -v[14:15]
	v_add_f64 v[6:7], v[10:11], v[14:15]
	s_waitcnt vmcnt(0)
	v_mul_f64 v[24:25], v[198:199], v[174:175]
	v_fma_f64 v[4:5], s[8:9], v[2:3], v[184:185]
	v_fmac_f64_e32 v[184:185], s[12:13], v[2:3]
	v_add_f64 v[2:3], v[186:187], v[10:11]
	v_fmac_f64_e32 v[186:187], -0.5, v[6:7]
	v_add_f64 v[8:9], v[8:9], -v[12:13]
	v_add_f64 v[10:11], v[16:17], v[20:21]
	v_fma_f64 v[24:25], v[196:197], v[172:173], -v[24:25]
	v_mul_f64 v[26:27], v[196:197], v[174:175]
	v_add_f64 v[2:3], v[2:3], v[14:15]
	v_fma_f64 v[6:7], s[12:13], v[8:9], v[186:187]
	v_fmac_f64_e32 v[186:187], s[8:9], v[8:9]
	v_add_f64 v[8:9], v[180:181], v[16:17]
	v_fmac_f64_e32 v[180:181], -0.5, v[10:11]
	v_add_f64 v[10:11], v[18:19], -v[22:23]
	v_add_f64 v[14:15], v[18:19], v[22:23]
	v_fmac_f64_e32 v[26:27], v[198:199], v[172:173]
	v_add_f64 v[0:1], v[0:1], v[12:13]
	v_fma_f64 v[12:13], s[8:9], v[10:11], v[180:181]
	v_fmac_f64_e32 v[180:181], s[12:13], v[10:11]
	v_add_f64 v[10:11], v[182:183], v[18:19]
	v_fmac_f64_e32 v[182:183], -0.5, v[14:15]
	v_add_f64 v[16:17], v[16:17], -v[20:21]
	v_add_f64 v[18:19], v[24:25], v[28:29]
	v_add_f64 v[10:11], v[10:11], v[22:23]
	v_fma_f64 v[14:15], s[12:13], v[16:17], v[182:183]
	v_fmac_f64_e32 v[182:183], s[8:9], v[16:17]
	v_add_f64 v[16:17], v[176:177], v[24:25]
	v_fmac_f64_e32 v[176:177], -0.5, v[18:19]
	v_add_f64 v[18:19], v[26:27], -v[30:31]
	v_add_f64 v[22:23], v[26:27], v[30:31]
	v_add_f64 v[8:9], v[8:9], v[20:21]
	v_fma_f64 v[20:21], s[8:9], v[18:19], v[176:177]
	v_fmac_f64_e32 v[176:177], s[12:13], v[18:19]
	v_add_f64 v[18:19], v[178:179], v[26:27]
	v_fmac_f64_e32 v[178:179], -0.5, v[22:23]
	v_add_f64 v[24:25], v[24:25], -v[28:29]
	v_fma_f64 v[22:23], s[12:13], v[24:25], v[178:179]
	v_fmac_f64_e32 v[178:179], s[8:9], v[24:25]
	v_mov_b32_e32 v24, 0x1d4
	v_cndmask_b32_e64 v24, 0, v24, s[0:1]
	v_add_lshl_u32 v36, v204, v24, 4
	ds_write_b128 v232, v[192:195]
	ds_write_b128 v232, v[32:35] offset:2496
	ds_write_b128 v232, v[188:191] offset:4992
	ds_write_b128 v36, v[0:3]
	ds_write_b128 v36, v[4:7] offset:2496
	ds_write_b128 v36, v[184:187] offset:4992
	v_mad_legacy_u16 v0, v37, s14, v38
	v_add_f64 v[16:17], v[16:17], v[28:29]
	v_add_f64 v[18:19], v[18:19], v[30:31]
	v_lshlrev_b32_e32 v37, 4, v0
	v_lshlrev_b32_e32 v38, 4, v39
	ds_write_b128 v37, v[8:11]
	ds_write_b128 v37, v[12:15] offset:2496
	ds_write_b128 v37, v[180:183] offset:4992
	;; [unrolled: 1-line block ×5, first 2 shown]
	v_add_co_u32_e64 v18, s[0:1], s16, v250
	s_mov_b64 s[14:15], 0x1d20
	s_nop 0
	v_addc_co_u32_e64 v19, s[0:1], 0, v251, s[0:1]
	s_waitcnt lgkmcnt(0)
	s_barrier
	ds_read_b128 v[220:223], v232
	ds_read_b128 v[2:5], v232 offset:7488
	ds_read_b128 v[6:9], v232 offset:14976
	;; [unrolled: 1-line block ×11, first 2 shown]
	v_lshl_add_u64 v[0:1], v[250:251], 0, s[14:15]
	global_load_dwordx4 v[176:179], v[18:19], off offset:3360
	global_load_dwordx4 v[180:183], v[0:1], off offset:16
	v_lshl_add_u64 v[24:25], s[10:11], 0, v[240:241]
	v_lshl_add_u64 v[26:27], v[24:25], 0, s[14:15]
	s_waitcnt vmcnt(1) lgkmcnt(10)
	v_mul_f64 v[0:1], v[4:5], v[178:179]
	v_fma_f64 v[0:1], v[2:3], v[176:177], -v[0:1]
	v_mul_f64 v[2:3], v[2:3], v[178:179]
	v_fmac_f64_e32 v[2:3], v[4:5], v[176:177]
	s_waitcnt vmcnt(0) lgkmcnt(9)
	v_mul_f64 v[4:5], v[8:9], v[182:183]
	v_fma_f64 v[4:5], v[6:7], v[180:181], -v[4:5]
	v_mul_f64 v[6:7], v[6:7], v[182:183]
	v_fmac_f64_e32 v[6:7], v[8:9], v[180:181]
	v_lshl_add_u64 v[8:9], s[10:11], 0, v[248:249]
	v_lshl_add_u64 v[18:19], v[8:9], 0, s[14:15]
	v_add_co_u32_e64 v8, s[0:1], s16, v8
	s_nop 1
	v_addc_co_u32_e64 v9, s[0:1], 0, v9, s[0:1]
	global_load_dwordx4 v[184:187], v[8:9], off offset:3360
	global_load_dwordx4 v[188:191], v[18:19], off offset:16
	s_waitcnt vmcnt(1) lgkmcnt(7)
	v_mul_f64 v[8:9], v[12:13], v[186:187]
	v_fma_f64 v[8:9], v[10:11], v[184:185], -v[8:9]
	v_mul_f64 v[10:11], v[10:11], v[186:187]
	v_fmac_f64_e32 v[10:11], v[12:13], v[184:185]
	s_waitcnt vmcnt(0) lgkmcnt(6)
	v_mul_f64 v[12:13], v[16:17], v[190:191]
	v_fma_f64 v[12:13], v[14:15], v[188:189], -v[12:13]
	v_mul_f64 v[14:15], v[14:15], v[190:191]
	v_fmac_f64_e32 v[14:15], v[16:17], v[188:189]
	v_lshl_add_u64 v[16:17], s[10:11], 0, v[238:239]
	v_lshl_add_u64 v[18:19], v[16:17], 0, s[14:15]
	v_add_co_u32_e64 v16, s[0:1], s16, v16
	s_nop 1
	v_addc_co_u32_e64 v17, s[0:1], 0, v17, s[0:1]
	global_load_dwordx4 v[192:195], v[16:17], off offset:3360
	global_load_dwordx4 v[196:199], v[18:19], off offset:16
	v_add_co_u32_e64 v24, s[0:1], s16, v24
	s_waitcnt vmcnt(1) lgkmcnt(4)
	v_mul_f64 v[16:17], v[206:207], v[194:195]
	v_mul_f64 v[18:19], v[204:205], v[194:195]
	s_waitcnt vmcnt(0) lgkmcnt(3)
	v_mul_f64 v[20:21], v[202:203], v[198:199]
	v_mul_f64 v[22:23], v[200:201], v[198:199]
	v_addc_co_u32_e64 v25, s[0:1], 0, v25, s[0:1]
	v_fma_f64 v[16:17], v[204:205], v[192:193], -v[16:17]
	v_fmac_f64_e32 v[18:19], v[206:207], v[192:193]
	v_fma_f64 v[20:21], v[200:201], v[196:197], -v[20:21]
	v_fmac_f64_e32 v[22:23], v[202:203], v[196:197]
	global_load_dwordx4 v[200:203], v[24:25], off offset:3360
	global_load_dwordx4 v[204:207], v[26:27], off offset:16
	v_add_f64 v[26:27], v[0:1], v[4:5]
	s_mov_b64 s[0:1], 0x57c0
	s_waitcnt vmcnt(1) lgkmcnt(1)
	v_mul_f64 v[24:25], v[230:231], v[202:203]
	v_fma_f64 v[32:33], v[228:229], v[200:201], -v[24:25]
	s_waitcnt vmcnt(0) lgkmcnt(0)
	v_mul_f64 v[24:25], v[226:227], v[206:207]
	v_fma_f64 v[40:41], v[224:225], v[204:205], -v[24:25]
	v_add_f64 v[24:25], v[220:221], v[0:1]
	v_fmac_f64_e32 v[220:221], -0.5, v[26:27]
	v_add_f64 v[26:27], v[2:3], -v[6:7]
	v_fma_f64 v[28:29], s[8:9], v[26:27], v[220:221]
	v_fmac_f64_e32 v[220:221], s[12:13], v[26:27]
	v_add_f64 v[26:27], v[222:223], v[2:3]
	v_add_f64 v[2:3], v[2:3], v[6:7]
	v_fmac_f64_e32 v[222:223], -0.5, v[2:3]
	v_add_f64 v[0:1], v[0:1], -v[4:5]
	v_add_f64 v[2:3], v[8:9], v[12:13]
	v_add_f64 v[26:27], v[26:27], v[6:7]
	v_fma_f64 v[30:31], s[12:13], v[0:1], v[222:223]
	v_fmac_f64_e32 v[222:223], s[8:9], v[0:1]
	v_add_f64 v[0:1], v[216:217], v[8:9]
	v_fmac_f64_e32 v[216:217], -0.5, v[2:3]
	v_add_f64 v[2:3], v[10:11], -v[14:15]
	v_add_f64 v[6:7], v[10:11], v[14:15]
	v_add_f64 v[24:25], v[24:25], v[4:5]
	v_fma_f64 v[4:5], s[8:9], v[2:3], v[216:217]
	v_fmac_f64_e32 v[216:217], s[12:13], v[2:3]
	v_add_f64 v[2:3], v[218:219], v[10:11]
	v_fmac_f64_e32 v[218:219], -0.5, v[6:7]
	v_add_f64 v[8:9], v[8:9], -v[12:13]
	v_add_f64 v[10:11], v[16:17], v[20:21]
	v_mul_f64 v[34:35], v[228:229], v[202:203]
	v_mul_f64 v[42:43], v[224:225], v[206:207]
	v_add_f64 v[2:3], v[2:3], v[14:15]
	v_fma_f64 v[6:7], s[12:13], v[8:9], v[218:219]
	v_fmac_f64_e32 v[218:219], s[8:9], v[8:9]
	v_add_f64 v[8:9], v[212:213], v[16:17]
	v_fmac_f64_e32 v[212:213], -0.5, v[10:11]
	v_add_f64 v[10:11], v[18:19], -v[22:23]
	v_add_f64 v[14:15], v[18:19], v[22:23]
	v_fmac_f64_e32 v[34:35], v[230:231], v[200:201]
	v_fmac_f64_e32 v[42:43], v[226:227], v[204:205]
	v_add_f64 v[0:1], v[0:1], v[12:13]
	v_fma_f64 v[12:13], s[8:9], v[10:11], v[212:213]
	v_fmac_f64_e32 v[212:213], s[12:13], v[10:11]
	v_add_f64 v[10:11], v[214:215], v[18:19]
	v_fmac_f64_e32 v[214:215], -0.5, v[14:15]
	v_add_f64 v[16:17], v[16:17], -v[20:21]
	v_add_f64 v[18:19], v[32:33], v[40:41]
	v_add_f64 v[10:11], v[10:11], v[22:23]
	v_fma_f64 v[14:15], s[12:13], v[16:17], v[214:215]
	v_fmac_f64_e32 v[214:215], s[8:9], v[16:17]
	v_add_f64 v[16:17], v[208:209], v[32:33]
	v_fmac_f64_e32 v[208:209], -0.5, v[18:19]
	v_add_f64 v[18:19], v[34:35], -v[42:43]
	v_add_f64 v[22:23], v[34:35], v[42:43]
	;; [unrolled: 7-line block ×3, first 2 shown]
	v_add_f64 v[18:19], v[18:19], v[42:43]
	v_fma_f64 v[22:23], s[12:13], v[32:33], v[210:211]
	v_fmac_f64_e32 v[210:211], s[8:9], v[32:33]
	ds_write_b128 v232, v[24:27]
	ds_write_b128 v232, v[28:31] offset:7488
	ds_write_b128 v232, v[220:223] offset:14976
	;; [unrolled: 1-line block ×11, first 2 shown]
	v_lshl_add_u64 v[12:13], v[246:247], 0, s[0:1]
	s_movk_i32 s0, 0x5000
	v_add_co_u32_e64 v4, s[0:1], s0, v246
	s_waitcnt lgkmcnt(0)
	s_nop 0
	v_addc_co_u32_e64 v5, s[0:1], 0, v247, s[0:1]
	s_barrier
	global_load_dwordx4 v[4:7], v[4:5], off offset:1984
	ds_read_b128 v[0:3], v232
	ds_read_b128 v[208:211], v232 offset:20592
	s_mov_b32 s0, 0x8000
	v_add_co_u32_e64 v14, s[0:1], s0, v246
	s_waitcnt vmcnt(0) lgkmcnt(1)
	v_mul_f64 v[8:9], v[2:3], v[6:7]
	v_mul_f64 v[10:11], v[0:1], v[6:7]
	v_addc_co_u32_e64 v15, s[0:1], 0, v247, s[0:1]
	v_fma_f64 v[8:9], v[0:1], v[4:5], -v[8:9]
	v_fmac_f64_e32 v[10:11], v[2:3], v[4:5]
	global_load_dwordx4 v[4:7], v[14:15], off offset:928
	ds_read_b128 v[0:3], v232 offset:11232
	ds_write_b128 v232, v[8:11]
	s_mov_b32 s0, 0x9000
	s_waitcnt vmcnt(0) lgkmcnt(1)
	v_mul_f64 v[8:9], v[2:3], v[6:7]
	v_mul_f64 v[10:11], v[0:1], v[6:7]
	v_fma_f64 v[8:9], v[0:1], v[4:5], -v[8:9]
	v_fmac_f64_e32 v[10:11], v[2:3], v[4:5]
	global_load_dwordx4 v[4:7], v[12:13], off offset:1872
	ds_read_b128 v[0:3], v232 offset:1872
	ds_write_b128 v232, v[8:11] offset:11232
	s_waitcnt vmcnt(0) lgkmcnt(1)
	v_mul_f64 v[8:9], v[2:3], v[6:7]
	v_mul_f64 v[10:11], v[0:1], v[6:7]
	v_fma_f64 v[8:9], v[0:1], v[4:5], -v[8:9]
	v_fmac_f64_e32 v[10:11], v[2:3], v[4:5]
	global_load_dwordx4 v[4:7], v[14:15], off offset:2800
	ds_read_b128 v[0:3], v232 offset:13104
	ds_write_b128 v232, v[8:11] offset:1872
	s_waitcnt vmcnt(0) lgkmcnt(1)
	v_mul_f64 v[8:9], v[2:3], v[6:7]
	v_mul_f64 v[10:11], v[0:1], v[6:7]
	v_fma_f64 v[8:9], v[0:1], v[4:5], -v[8:9]
	v_fmac_f64_e32 v[10:11], v[2:3], v[4:5]
	global_load_dwordx4 v[4:7], v[12:13], off offset:3744
	ds_read_b128 v[0:3], v232 offset:3744
	v_add_co_u32_e64 v12, s[0:1], s0, v246
	ds_write_b128 v232, v[8:11] offset:13104
	s_nop 0
	v_addc_co_u32_e64 v13, s[0:1], 0, v247, s[0:1]
	s_movk_i32 s0, 0x6000
	s_waitcnt vmcnt(0) lgkmcnt(1)
	v_mul_f64 v[8:9], v[2:3], v[6:7]
	v_mul_f64 v[10:11], v[0:1], v[6:7]
	v_fma_f64 v[8:9], v[0:1], v[4:5], -v[8:9]
	v_fmac_f64_e32 v[10:11], v[2:3], v[4:5]
	global_load_dwordx4 v[4:7], v[12:13], off offset:576
	ds_read_b128 v[0:3], v232 offset:14976
	ds_write_b128 v232, v[8:11] offset:3744
	s_waitcnt vmcnt(0) lgkmcnt(1)
	v_mul_f64 v[8:9], v[2:3], v[6:7]
	v_mul_f64 v[10:11], v[0:1], v[6:7]
	v_fma_f64 v[8:9], v[0:1], v[4:5], -v[8:9]
	v_fmac_f64_e32 v[10:11], v[2:3], v[4:5]
	v_add_co_u32_e64 v4, s[0:1], s0, v246
	ds_read_b128 v[0:3], v232 offset:5616
	s_nop 0
	v_addc_co_u32_e64 v5, s[0:1], 0, v247, s[0:1]
	global_load_dwordx4 v[4:7], v[4:5], off offset:3504
	ds_write_b128 v232, v[8:11] offset:14976
	s_movk_i32 s0, 0x7000
	s_waitcnt vmcnt(0) lgkmcnt(1)
	v_mul_f64 v[8:9], v[2:3], v[6:7]
	v_mul_f64 v[10:11], v[0:1], v[6:7]
	v_fma_f64 v[8:9], v[0:1], v[4:5], -v[8:9]
	v_fmac_f64_e32 v[10:11], v[2:3], v[4:5]
	global_load_dwordx4 v[4:7], v[12:13], off offset:2448
	ds_read_b128 v[0:3], v232 offset:16848
	v_add_co_u32_e64 v12, s[0:1], s0, v246
	ds_write_b128 v232, v[8:11] offset:5616
	s_nop 0
	v_addc_co_u32_e64 v13, s[0:1], 0, v247, s[0:1]
	s_mov_b32 s0, 0xa000
	s_nop 0
	v_add_co_u32_e64 v14, s[0:1], s0, v246
	s_waitcnt vmcnt(0) lgkmcnt(1)
	v_mul_f64 v[8:9], v[2:3], v[6:7]
	v_mul_f64 v[10:11], v[0:1], v[6:7]
	v_fma_f64 v[8:9], v[0:1], v[4:5], -v[8:9]
	v_fmac_f64_e32 v[10:11], v[2:3], v[4:5]
	global_load_dwordx4 v[4:7], v[12:13], off offset:1280
	ds_read_b128 v[0:3], v232 offset:7488
	ds_write_b128 v232, v[8:11] offset:16848
	v_addc_co_u32_e64 v15, s[0:1], 0, v247, s[0:1]
	s_waitcnt vmcnt(0) lgkmcnt(1)
	v_mul_f64 v[8:9], v[2:3], v[6:7]
	v_mul_f64 v[10:11], v[0:1], v[6:7]
	v_fma_f64 v[8:9], v[0:1], v[4:5], -v[8:9]
	v_fmac_f64_e32 v[10:11], v[2:3], v[4:5]
	global_load_dwordx4 v[4:7], v[14:15], off offset:224
	ds_read_b128 v[0:3], v232 offset:18720
	ds_write_b128 v232, v[8:11] offset:7488
	s_waitcnt vmcnt(0) lgkmcnt(1)
	v_mul_f64 v[8:9], v[2:3], v[6:7]
	v_mul_f64 v[10:11], v[0:1], v[6:7]
	v_fma_f64 v[8:9], v[0:1], v[4:5], -v[8:9]
	v_fmac_f64_e32 v[10:11], v[2:3], v[4:5]
	global_load_dwordx4 v[4:7], v[12:13], off offset:3152
	ds_read_b128 v[0:3], v232 offset:9360
	ds_write_b128 v232, v[8:11] offset:18720
	s_waitcnt vmcnt(0) lgkmcnt(1)
	v_mul_f64 v[8:9], v[2:3], v[6:7]
	v_mul_f64 v[10:11], v[0:1], v[6:7]
	v_fma_f64 v[8:9], v[0:1], v[4:5], -v[8:9]
	v_fmac_f64_e32 v[10:11], v[2:3], v[4:5]
	global_load_dwordx4 v[0:3], v[14:15], off offset:2096
	ds_write_b128 v232, v[8:11] offset:9360
	s_waitcnt vmcnt(0)
	v_mul_f64 v[4:5], v[210:211], v[2:3]
	v_mul_f64 v[6:7], v[208:209], v[2:3]
	v_fma_f64 v[4:5], v[208:209], v[0:1], -v[4:5]
	v_fmac_f64_e32 v[6:7], v[210:211], v[0:1]
	ds_write_b128 v232, v[4:7] offset:20592
	s_waitcnt lgkmcnt(0)
	s_barrier
	ds_read_b128 v[0:3], v232
	ds_read_b128 v[4:7], v232 offset:11232
	ds_read_b128 v[8:11], v232 offset:1872
	ds_read_b128 v[12:15], v232 offset:13104
	ds_read_b128 v[16:19], v232 offset:3744
	ds_read_b128 v[20:23], v232 offset:14976
	ds_read_b128 v[24:27], v232 offset:5616
	ds_read_b128 v[28:31], v232 offset:16848
	ds_read_b128 v[32:35], v232 offset:7488
	ds_read_b128 v[40:43], v232 offset:18720
	ds_read_b128 v[44:47], v232 offset:9360
	ds_read_b128 v[84:87], v232 offset:20592
	s_waitcnt lgkmcnt(10)
	v_add_f64 v[4:5], v[0:1], -v[4:5]
	v_add_f64 v[6:7], v[2:3], -v[6:7]
	s_waitcnt lgkmcnt(8)
	v_add_f64 v[12:13], v[8:9], -v[12:13]
	v_add_f64 v[14:15], v[10:11], -v[14:15]
	;; [unrolled: 3-line block ×6, first 2 shown]
	v_fma_f64 v[0:1], v[0:1], 2.0, -v[4:5]
	v_fma_f64 v[2:3], v[2:3], 2.0, -v[6:7]
	v_fma_f64 v[8:9], v[8:9], 2.0, -v[12:13]
	v_fma_f64 v[10:11], v[10:11], 2.0, -v[14:15]
	v_fma_f64 v[16:17], v[16:17], 2.0, -v[20:21]
	v_fma_f64 v[18:19], v[18:19], 2.0, -v[22:23]
	v_fma_f64 v[24:25], v[24:25], 2.0, -v[28:29]
	v_fma_f64 v[26:27], v[26:27], 2.0, -v[30:31]
	v_fma_f64 v[32:33], v[32:33], 2.0, -v[40:41]
	v_fma_f64 v[34:35], v[34:35], 2.0, -v[42:43]
	v_fma_f64 v[44:45], v[44:45], 2.0, -v[84:85]
	v_fma_f64 v[46:47], v[46:47], 2.0, -v[86:87]
	s_barrier
	ds_write_b128 v98, v[0:3]
	ds_write_b128 v98, v[4:7] offset:16
	ds_write_b128 v99, v[8:11]
	ds_write_b128 v99, v[12:15] offset:16
	ds_write_b128 v238, v[16:19]
	ds_write_b128 v238, v[20:23] offset:16
	ds_write_b128 v240, v[24:27]
	ds_write_b128 v240, v[28:31] offset:16
	ds_write_b128 v100, v[32:35]
	ds_write_b128 v100, v[40:43] offset:16
	ds_write_b128 v101, v[44:47]
	ds_write_b128 v101, v[84:87] offset:16
	s_waitcnt lgkmcnt(0)
	s_barrier
	ds_read_b128 v[0:3], v232
	ds_read_b128 v[4:7], v232 offset:11232
	ds_read_b128 v[8:11], v232 offset:1872
	;; [unrolled: 1-line block ×11, first 2 shown]
	s_waitcnt lgkmcnt(10)
	v_mul_f64 v[96:97], v[50:51], v[6:7]
	v_fmac_f64_e32 v[96:97], v[48:49], v[4:5]
	v_mul_f64 v[4:5], v[50:51], v[4:5]
	v_fma_f64 v[6:7], v[48:49], v[6:7], -v[4:5]
	s_waitcnt lgkmcnt(8)
	v_mul_f64 v[4:5], v[54:55], v[12:13]
	v_mul_f64 v[98:99], v[54:55], v[14:15]
	v_fma_f64 v[14:15], v[102:103], v[14:15], -v[4:5]
	s_waitcnt lgkmcnt(6)
	v_mul_f64 v[4:5], v[50:51], v[20:21]
	;; [unrolled: 4-line block ×3, first 2 shown]
	v_mul_f64 v[4:5], v[58:59], v[28:29]
	v_fmac_f64_e32 v[100:101], v[56:57], v[28:29]
	v_fma_f64 v[30:31], v[56:57], v[30:31], -v[4:5]
	s_waitcnt lgkmcnt(2)
	v_mul_f64 v[56:57], v[50:51], v[42:43]
	v_mul_f64 v[4:5], v[50:51], v[40:41]
	v_fmac_f64_e32 v[98:99], v[102:103], v[12:13]
	v_fmac_f64_e32 v[54:55], v[48:49], v[20:21]
	;; [unrolled: 1-line block ×3, first 2 shown]
	v_fma_f64 v[42:43], v[48:49], v[42:43], -v[4:5]
	s_waitcnt lgkmcnt(0)
	v_mul_f64 v[48:49], v[104:105], v[86:87]
	v_mul_f64 v[4:5], v[104:105], v[84:85]
	v_fmac_f64_e32 v[48:49], v[52:53], v[84:85]
	v_fma_f64 v[50:51], v[52:53], v[86:87], -v[4:5]
	v_add_f64 v[4:5], v[0:1], -v[96:97]
	v_add_f64 v[6:7], v[2:3], -v[6:7]
	;; [unrolled: 1-line block ×9, first 2 shown]
	v_fma_f64 v[0:1], v[0:1], 2.0, -v[4:5]
	v_fma_f64 v[2:3], v[2:3], 2.0, -v[6:7]
	;; [unrolled: 1-line block ×8, first 2 shown]
	v_add_f64 v[42:43], v[34:35], -v[42:43]
	v_fma_f64 v[32:33], v[32:33], 2.0, -v[40:41]
	v_add_f64 v[48:49], v[44:45], -v[48:49]
	v_add_f64 v[50:51], v[46:47], -v[50:51]
	v_fma_f64 v[34:35], v[34:35], 2.0, -v[42:43]
	v_fma_f64 v[44:45], v[44:45], 2.0, -v[48:49]
	;; [unrolled: 1-line block ×3, first 2 shown]
	s_barrier
	ds_write_b128 v106, v[0:3]
	ds_write_b128 v106, v[4:7] offset:32
	ds_write_b128 v107, v[8:11]
	ds_write_b128 v107, v[12:15] offset:32
	ds_write_b128 v108, v[16:19]
	ds_write_b128 v108, v[20:23] offset:32
	ds_write_b128 v109, v[24:27]
	ds_write_b128 v109, v[28:31] offset:32
	ds_write_b128 v110, v[32:35]
	ds_write_b128 v110, v[40:43] offset:32
	ds_write_b128 v111, v[44:47]
	ds_write_b128 v111, v[48:51] offset:32
	s_waitcnt lgkmcnt(0)
	s_barrier
	ds_read_b128 v[52:55], v232
	ds_read_b128 v[0:3], v232 offset:7488
	ds_read_b128 v[4:7], v232 offset:14976
	;; [unrolled: 1-line block ×11, first 2 shown]
	s_waitcnt lgkmcnt(10)
	v_mul_f64 v[32:33], v[66:67], v[2:3]
	v_fmac_f64_e32 v[32:33], v[64:65], v[0:1]
	v_mul_f64 v[0:1], v[66:67], v[0:1]
	v_fma_f64 v[0:1], v[64:65], v[2:3], -v[0:1]
	s_waitcnt lgkmcnt(9)
	v_mul_f64 v[2:3], v[62:63], v[6:7]
	v_fmac_f64_e32 v[2:3], v[60:61], v[4:5]
	v_mul_f64 v[4:5], v[62:63], v[4:5]
	v_fma_f64 v[4:5], v[60:61], v[6:7], -v[4:5]
	s_waitcnt lgkmcnt(7)
	v_mul_f64 v[6:7], v[70:71], v[10:11]
	v_fmac_f64_e32 v[6:7], v[68:69], v[8:9]
	v_mul_f64 v[8:9], v[70:71], v[8:9]
	v_fma_f64 v[8:9], v[68:69], v[10:11], -v[8:9]
	s_waitcnt lgkmcnt(6)
	v_mul_f64 v[10:11], v[74:75], v[14:15]
	v_fmac_f64_e32 v[10:11], v[72:73], v[12:13]
	v_mul_f64 v[12:13], v[74:75], v[12:13]
	v_fma_f64 v[12:13], v[72:73], v[14:15], -v[12:13]
	s_waitcnt lgkmcnt(4)
	v_mul_f64 v[14:15], v[78:79], v[18:19]
	v_fmac_f64_e32 v[14:15], v[76:77], v[16:17]
	v_mul_f64 v[16:17], v[78:79], v[16:17]
	v_fma_f64 v[16:17], v[76:77], v[18:19], -v[16:17]
	s_waitcnt lgkmcnt(3)
	v_mul_f64 v[18:19], v[82:83], v[22:23]
	v_fmac_f64_e32 v[18:19], v[80:81], v[20:21]
	v_mul_f64 v[20:21], v[82:83], v[20:21]
	v_fma_f64 v[20:21], v[80:81], v[22:23], -v[20:21]
	s_waitcnt lgkmcnt(1)
	v_mul_f64 v[22:23], v[90:91], v[26:27]
	v_fmac_f64_e32 v[22:23], v[88:89], v[24:25]
	v_mul_f64 v[24:25], v[90:91], v[24:25]
	v_fma_f64 v[24:25], v[88:89], v[26:27], -v[24:25]
	s_waitcnt lgkmcnt(0)
	v_mul_f64 v[26:27], v[94:95], v[30:31]
	v_fmac_f64_e32 v[26:27], v[92:93], v[28:29]
	v_mul_f64 v[28:29], v[94:95], v[28:29]
	v_fma_f64 v[28:29], v[92:93], v[30:31], -v[28:29]
	v_add_f64 v[30:31], v[52:53], v[32:33]
	v_add_f64 v[48:49], v[30:31], v[2:3]
	;; [unrolled: 1-line block ×3, first 2 shown]
	v_fmac_f64_e32 v[52:53], -0.5, v[30:31]
	v_add_f64 v[30:31], v[0:1], -v[4:5]
	v_fma_f64 v[60:61], s[12:13], v[30:31], v[52:53]
	v_fmac_f64_e32 v[52:53], s[8:9], v[30:31]
	v_add_f64 v[30:31], v[54:55], v[0:1]
	v_add_f64 v[0:1], v[0:1], v[4:5]
	v_fmac_f64_e32 v[54:55], -0.5, v[0:1]
	v_add_f64 v[0:1], v[32:33], -v[2:3]
	v_fma_f64 v[62:63], s[8:9], v[0:1], v[54:55]
	v_fmac_f64_e32 v[54:55], s[12:13], v[0:1]
	v_add_f64 v[0:1], v[56:57], v[6:7]
	v_add_f64 v[64:65], v[0:1], v[10:11]
	v_add_f64 v[0:1], v[6:7], v[10:11]
	v_fmac_f64_e32 v[56:57], -0.5, v[0:1]
	v_add_f64 v[0:1], v[8:9], -v[12:13]
	v_fma_f64 v[68:69], s[12:13], v[0:1], v[56:57]
	v_fmac_f64_e32 v[56:57], s[8:9], v[0:1]
	v_add_f64 v[0:1], v[58:59], v[8:9]
	;; [unrolled: 7-line block ×6, first 2 shown]
	v_add_f64 v[82:83], v[0:1], v[28:29]
	v_add_f64 v[0:1], v[24:25], v[28:29]
	v_fmac_f64_e32 v[210:211], -0.5, v[0:1]
	v_add_f64 v[0:1], v[22:23], -v[26:27]
	v_add_f64 v[50:51], v[30:31], v[4:5]
	v_fma_f64 v[78:79], s[8:9], v[0:1], v[210:211]
	v_fmac_f64_e32 v[210:211], s[12:13], v[0:1]
	s_barrier
	ds_write_b128 v233, v[48:51]
	ds_write_b128 v233, v[60:63] offset:64
	ds_write_b128 v233, v[52:55] offset:128
	ds_write_b128 v118, v[64:67]
	ds_write_b128 v118, v[68:71] offset:64
	ds_write_b128 v118, v[56:59] offset:128
	;; [unrolled: 3-line block ×4, first 2 shown]
	s_waitcnt lgkmcnt(0)
	s_barrier
	s_and_saveexec_b64 s[0:1], vcc
	s_cbranch_execz .LBB0_7
; %bb.6:
	ds_read_b128 v[48:51], v232
	ds_read_b128 v[60:63], v232 offset:1728
	ds_read_b128 v[52:55], v232 offset:3456
	ds_read_b128 v[64:67], v232 offset:5184
	ds_read_b128 v[68:71], v232 offset:6912
	ds_read_b128 v[56:59], v232 offset:8640
	ds_read_b128 v[72:75], v232 offset:10368
	ds_read_b128 v[88:91], v232 offset:12096
	ds_read_b128 v[212:215], v232 offset:13824
	ds_read_b128 v[80:83], v232 offset:15552
	ds_read_b128 v[76:79], v232 offset:17280
	ds_read_b128 v[208:211], v232 offset:19008
	ds_read_b128 a[104:107], v232 offset:20736
.LBB0_7:
	s_or_b64 exec, exec, s[0:1]
	s_waitcnt lgkmcnt(0)
	s_barrier
	s_and_saveexec_b64 s[0:1], vcc
	s_cbranch_execz .LBB0_9
; %bb.8:
	v_mul_f64 v[92:93], v[134:135], v[74:75]
	v_mul_f64 v[0:1], v[134:135], v[72:73]
	v_fmac_f64_e32 v[92:93], v[132:133], v[72:73]
	v_mul_f64 v[94:95], v[130:131], v[90:91]
	v_fma_f64 v[132:133], v[132:133], v[74:75], -v[0:1]
	v_mul_f64 v[0:1], v[130:131], v[88:89]
	v_accvgpr_read_b32 v2, a92
	v_fmac_f64_e32 v[94:95], v[128:129], v[88:89]
	v_fma_f64 v[128:129], v[128:129], v[90:91], -v[0:1]
	v_accvgpr_read_b32 v4, a94
	v_accvgpr_read_b32 v5, a95
	v_mul_f64 v[0:1], v[122:123], v[56:57]
	v_mul_f64 v[88:89], v[122:123], v[58:59]
	v_accvgpr_read_b32 v3, a93
	v_mul_f64 v[90:91], v[4:5], v[214:215]
	v_fma_f64 v[130:131], v[120:121], v[58:59], -v[0:1]
	v_mul_f64 v[0:1], v[4:5], v[212:213]
	v_fmac_f64_e32 v[88:89], v[120:121], v[56:57]
	v_fmac_f64_e32 v[90:91], v[2:3], v[212:213]
	v_fma_f64 v[120:121], v[2:3], v[214:215], -v[0:1]
	v_accvgpr_read_b32 v2, a72
	v_accvgpr_read_b32 v4, a74
	;; [unrolled: 1-line block ×4, first 2 shown]
	v_mul_f64 v[0:1], v[4:5], v[68:69]
	v_fma_f64 v[106:107], v[2:3], v[70:71], -v[0:1]
	v_mul_f64 v[0:1], v[138:139], v[80:81]
	v_accvgpr_read_b32 v16, a96
	v_mul_f64 v[116:117], v[138:139], v[82:83]
	v_fma_f64 v[82:83], v[136:137], v[82:83], -v[0:1]
	v_accvgpr_read_b32 v18, a98
	v_accvgpr_read_b32 v19, a99
	v_mul_f64 v[0:1], v[126:127], v[64:65]
	v_fmac_f64_e32 v[116:117], v[136:137], v[80:81]
	v_mul_f64 v[104:105], v[126:127], v[66:67]
	v_accvgpr_read_b32 v17, a97
	v_mul_f64 v[80:81], v[18:19], v[78:79]
	v_fma_f64 v[136:137], v[124:125], v[66:67], -v[0:1]
	v_mul_f64 v[0:1], v[18:19], v[76:77]
	v_accvgpr_read_b32 v18, a84
	v_accvgpr_read_b32 v24, a60
	;; [unrolled: 1-line block ×4, first 2 shown]
	v_fmac_f64_e32 v[104:105], v[124:125], v[64:65]
	v_fma_f64 v[102:103], v[16:17], v[78:79], -v[0:1]
	v_mul_f64 v[124:125], v[114:115], v[54:55]
	v_accvgpr_read_b32 v20, a86
	v_accvgpr_read_b32 v21, a87
	v_mul_f64 v[0:1], v[114:115], v[52:53]
	v_accvgpr_read_b32 v26, a62
	v_accvgpr_read_b32 v27, a63
	;; [unrolled: 1-line block ×6, first 2 shown]
	v_fmac_f64_e32 v[124:125], v[112:113], v[52:53]
	v_accvgpr_read_b32 v19, a85
	v_fma_f64 v[126:127], v[112:113], v[54:55], -v[0:1]
	v_mul_f64 v[0:1], v[20:21], v[208:209]
	v_accvgpr_read_b32 v25, a61
	v_mul_f64 v[112:113], v[26:27], v[62:63]
	v_accvgpr_read_b32 v29, a79
	v_accvgpr_read_b32 v33, a105
	v_mul_f64 v[96:97], v[30:31], v[34:35]
	v_mul_f64 v[100:101], v[20:21], v[210:211]
	v_fma_f64 v[98:99], v[18:19], v[210:211], -v[0:1]
	v_fmac_f64_e32 v[112:113], v[24:25], v[60:61]
	v_fmac_f64_e32 v[96:97], v[28:29], v[32:33]
	s_mov_b32 s28, 0x4bc48dbf
	v_mul_f64 v[0:1], v[26:27], v[60:61]
	v_mul_f64 v[6:7], v[30:31], v[32:33]
	v_fmac_f64_e32 v[100:101], v[18:19], v[208:209]
	v_add_f64 v[22:23], v[112:113], -v[96:97]
	s_mov_b32 s29, 0xbfcea1e5
	v_fma_f64 v[0:1], v[24:25], v[62:63], -v[0:1]
	v_fma_f64 v[84:85], v[28:29], v[34:35], -v[6:7]
	s_mov_b32 s26, 0x93053d00
	v_mul_f64 v[118:119], v[4:5], v[70:71]
	v_fmac_f64_e32 v[80:81], v[16:17], v[76:77]
	s_mov_b32 s20, 0x24c2f84
	v_add_f64 v[10:11], v[124:125], -v[100:101]
	s_mov_b32 s25, 0x3fddbe06
	s_mov_b32 s24, 0x4267c47c
	s_mov_b32 s18, 0xe00740e9
	v_mul_f64 v[58:59], v[22:23], s[28:29]
	v_add_f64 v[6:7], v[0:1], v[84:85]
	s_mov_b32 s27, 0xbfef11f4
	v_fmac_f64_e32 v[118:119], v[2:3], v[68:69]
	s_mov_b32 s34, 0x42a4c3d2
	v_add_f64 v[4:5], v[104:105], -v[80:81]
	s_mov_b32 s21, 0xbfe5384d
	s_mov_b32 s16, 0xd0032e0c
	v_mul_f64 v[56:57], v[10:11], s[24:25]
	v_add_f64 v[2:3], v[126:127], v[98:99]
	s_mov_b32 s19, 0x3fec55a7
	v_fma_f64 v[20:21], s[26:27], v[6:7], v[58:59]
	v_fma_f64 v[58:59], v[6:7], s[26:27], -v[58:59]
	s_mov_b32 s14, 0x2ef20147
	v_add_f64 v[214:215], v[118:119], -v[116:117]
	s_mov_b32 s35, 0x3fea55e2
	s_mov_b32 s12, 0x1ea71119
	v_mul_f64 v[46:47], v[4:5], s[20:21]
	v_add_f64 v[212:213], v[136:137], v[102:103]
	s_mov_b32 s17, 0xbfe7f3cc
	v_fma_f64 v[18:19], s[18:19], v[2:3], v[56:57]
	v_add_f64 v[20:21], v[50:51], v[20:21]
	v_add_f64 v[34:35], v[0:1], -v[84:85]
	v_fma_f64 v[56:57], v[2:3], s[18:19], -v[56:57]
	v_add_f64 v[58:59], v[50:51], v[58:59]
	s_mov_b32 s22, 0x66966769
	v_add_f64 v[218:219], v[88:89], -v[90:91]
	s_mov_b32 s15, 0xbfedeba7
	s_mov_b32 s10, 0xb2365da1
	v_mul_f64 v[44:45], v[214:215], s[34:35]
	v_add_f64 v[138:139], v[106:107], v[82:83]
	s_mov_b32 s13, 0x3fe22d96
	v_fma_f64 v[16:17], s[16:17], v[212:213], v[46:47]
	v_add_f64 v[18:19], v[18:19], v[20:21]
	v_add_f64 v[32:33], v[126:127], -v[98:99]
	v_add_f64 v[20:21], v[112:113], v[96:97]
	v_mul_f64 v[78:79], v[34:35], s[28:29]
	v_fma_f64 v[46:47], v[212:213], s[16:17], -v[46:47]
	v_add_f64 v[56:57], v[56:57], v[58:59]
	v_add_f64 v[216:217], v[92:93], -v[94:95]
	s_mov_b32 s23, 0x3fefc445
	s_mov_b32 s8, 0xebaa3ed8
	v_mul_f64 v[42:43], v[218:219], s[14:15]
	v_add_f64 v[122:123], v[130:131], v[120:121]
	s_mov_b32 s11, 0xbfd6b1d8
	v_fma_f64 v[14:15], s[12:13], v[138:139], v[44:45]
	v_add_f64 v[16:17], v[16:17], v[18:19]
	v_add_f64 v[30:31], v[136:137], -v[102:103]
	v_add_f64 v[18:19], v[124:125], v[100:101]
	v_mul_f64 v[74:75], v[32:33], s[24:25]
	v_fma_f64 v[86:87], v[20:21], s[26:27], -v[78:79]
	v_fma_f64 v[44:45], v[138:139], s[12:13], -v[44:45]
	v_add_f64 v[46:47], v[46:47], v[56:57]
	v_mul_f64 v[40:41], v[216:217], s[22:23]
	v_add_f64 v[134:135], v[132:133], v[128:129]
	s_mov_b32 s9, 0x3fbedb7d
	v_fma_f64 v[12:13], s[10:11], v[122:123], v[42:43]
	v_add_f64 v[14:15], v[14:15], v[16:17]
	v_add_f64 v[28:29], v[106:107], -v[82:83]
	v_add_f64 v[16:17], v[104:105], v[80:81]
	v_mul_f64 v[70:71], v[30:31], s[20:21]
	v_fma_f64 v[76:77], v[18:19], s[18:19], -v[74:75]
	v_add_f64 v[86:87], v[48:49], v[86:87]
	v_fma_f64 v[42:43], v[122:123], s[10:11], -v[42:43]
	v_add_f64 v[44:45], v[44:45], v[46:47]
	v_fma_f64 v[8:9], s[8:9], v[134:135], v[40:41]
	v_add_f64 v[12:13], v[12:13], v[14:15]
	v_add_f64 v[26:27], v[130:131], -v[120:121]
	v_add_f64 v[14:15], v[118:119], v[116:117]
	v_mul_f64 v[66:67], v[28:29], s[34:35]
	v_fma_f64 v[72:73], v[16:17], s[16:17], -v[70:71]
	v_add_f64 v[76:77], v[76:77], v[86:87]
	v_fma_f64 v[40:41], v[134:135], s[8:9], -v[40:41]
	v_add_f64 v[42:43], v[42:43], v[44:45]
	v_fmac_f64_e32 v[78:79], s[26:27], v[20:21]
	v_add_f64 v[54:55], v[8:9], v[12:13]
	v_add_f64 v[12:13], v[88:89], v[90:91]
	v_mul_f64 v[62:63], v[26:27], s[14:15]
	v_fma_f64 v[68:69], v[14:15], s[12:13], -v[66:67]
	v_add_f64 v[72:73], v[72:73], v[76:77]
	v_add_f64 v[58:59], v[40:41], v[42:43]
	v_fmac_f64_e32 v[74:75], s[18:19], v[18:19]
	v_add_f64 v[40:41], v[48:49], v[78:79]
	v_add_f64 v[24:25], v[132:133], -v[128:129]
	v_fma_f64 v[64:65], v[12:13], s[10:11], -v[62:63]
	v_add_f64 v[68:69], v[68:69], v[72:73]
	v_fmac_f64_e32 v[70:71], s[16:17], v[16:17]
	v_add_f64 v[40:41], v[74:75], v[40:41]
	v_mul_f64 v[72:73], v[22:23], s[20:21]
	v_add_f64 v[8:9], v[92:93], v[94:95]
	v_mul_f64 v[60:61], v[24:25], s[22:23]
	v_add_f64 v[64:65], v[64:65], v[68:69]
	v_fmac_f64_e32 v[66:67], s[12:13], v[14:15]
	v_add_f64 v[40:41], v[70:71], v[40:41]
	s_mov_b32 s31, 0xbfea55e2
	s_mov_b32 s30, s34
	v_mul_f64 v[68:69], v[10:11], s[22:23]
	v_fma_f64 v[74:75], s[16:17], v[6:7], v[72:73]
	v_fma_f64 v[52:53], v[8:9], s[8:9], -v[60:61]
	v_fmac_f64_e32 v[62:63], s[10:11], v[12:13]
	v_add_f64 v[40:41], v[66:67], v[40:41]
	s_mov_b32 s41, 0x3fcea1e5
	s_mov_b32 s40, s28
	v_mul_f64 v[66:67], v[4:5], s[30:31]
	v_fma_f64 v[70:71], s[8:9], v[2:3], v[68:69]
	v_add_f64 v[74:75], v[50:51], v[74:75]
	v_mul_f64 v[114:115], v[34:35], s[20:21]
	v_add_f64 v[52:53], v[52:53], v[64:65]
	v_fmac_f64_e32 v[60:61], s[8:9], v[8:9]
	v_add_f64 v[40:41], v[62:63], v[40:41]
	v_mul_f64 v[64:65], v[214:215], s[40:41]
	v_fma_f64 v[62:63], s[12:13], v[212:213], v[66:67]
	v_add_f64 v[70:71], v[70:71], v[74:75]
	v_mul_f64 v[108:109], v[32:33], s[22:23]
	v_fma_f64 v[164:165], v[20:21], s[16:17], -v[114:115]
	v_add_f64 v[56:57], v[60:61], v[40:41]
	v_mul_f64 v[44:45], v[218:219], s[24:25]
	v_fma_f64 v[60:61], s[26:27], v[138:139], v[64:65]
	v_add_f64 v[62:63], v[62:63], v[70:71]
	v_mul_f64 v[78:79], v[30:31], s[30:31]
	v_fma_f64 v[110:111], v[18:19], s[8:9], -v[108:109]
	;; [unrolled: 6-line block ×3, first 2 shown]
	v_add_f64 v[110:111], v[110:111], v[164:165]
	v_fma_f64 v[42:43], s[10:11], v[134:135], v[40:41]
	v_add_f64 v[46:47], v[46:47], v[60:61]
	v_mul_f64 v[70:71], v[26:27], s[24:25]
	v_fma_f64 v[76:77], v[14:15], s[26:27], -v[74:75]
	v_add_f64 v[86:87], v[86:87], v[110:111]
	v_add_f64 v[62:63], v[42:43], v[46:47]
	v_mul_f64 v[42:43], v[24:25], s[14:15]
	v_fma_f64 v[60:61], v[12:13], s[18:19], -v[70:71]
	v_add_f64 v[76:77], v[76:77], v[86:87]
	v_fma_f64 v[46:47], v[8:9], s[10:11], -v[42:43]
	v_add_f64 v[60:61], v[60:61], v[76:77]
	v_add_f64 v[60:61], v[46:47], v[60:61]
	v_fma_f64 v[46:47], v[138:139], s[26:27], -v[64:65]
	v_fma_f64 v[64:65], v[212:213], s[12:13], -v[66:67]
	;; [unrolled: 1-line block ×4, first 2 shown]
	v_add_f64 v[68:69], v[50:51], v[68:69]
	v_add_f64 v[66:67], v[66:67], v[68:69]
	;; [unrolled: 1-line block ×3, first 2 shown]
	v_fma_f64 v[44:45], v[122:123], s[18:19], -v[44:45]
	v_add_f64 v[46:47], v[46:47], v[64:65]
	v_fma_f64 v[40:41], v[134:135], s[10:11], -v[40:41]
	v_add_f64 v[44:45], v[44:45], v[46:47]
	v_fmac_f64_e32 v[114:115], s[16:17], v[20:21]
	v_add_f64 v[66:67], v[40:41], v[44:45]
	v_fmac_f64_e32 v[108:109], s[8:9], v[18:19]
	;; [unrolled: 2-line block ×3, first 2 shown]
	v_add_f64 v[40:41], v[108:109], v[40:41]
	s_mov_b32 s39, 0x3fe5384d
	s_mov_b32 s38, s20
	v_mul_f64 v[86:87], v[22:23], s[14:15]
	v_fmac_f64_e32 v[74:75], s[26:27], v[14:15]
	v_add_f64 v[40:41], v[78:79], v[40:41]
	v_mul_f64 v[76:77], v[10:11], s[38:39]
	v_fma_f64 v[108:109], s[10:11], v[6:7], v[86:87]
	v_fmac_f64_e32 v[70:71], s[18:19], v[12:13]
	v_add_f64 v[40:41], v[74:75], v[40:41]
	s_mov_b32 s37, 0xbfefc445
	s_mov_b32 s36, s22
	v_mul_f64 v[74:75], v[4:5], s[24:25]
	v_fma_f64 v[78:79], s[16:17], v[2:3], v[76:77]
	v_add_f64 v[108:109], v[50:51], v[108:109]
	v_mul_f64 v[210:211], v[34:35], s[14:15]
	v_add_f64 v[40:41], v[70:71], v[40:41]
	v_mul_f64 v[72:73], v[214:215], s[36:37]
	v_fma_f64 v[70:71], s[18:19], v[212:213], v[74:75]
	v_add_f64 v[78:79], v[78:79], v[108:109]
	v_mul_f64 v[166:167], v[32:33], s[38:39]
	v_fma_f64 v[220:221], v[20:21], s[10:11], -v[210:211]
	v_fmac_f64_e32 v[42:43], s[10:11], v[8:9]
	v_mul_f64 v[44:45], v[218:219], s[40:41]
	v_fma_f64 v[68:69], s[8:9], v[138:139], v[72:73]
	v_add_f64 v[70:71], v[70:71], v[78:79]
	v_mul_f64 v[114:115], v[30:31], s[24:25]
	v_fma_f64 v[208:209], v[18:19], s[16:17], -v[166:167]
	v_add_f64 v[220:221], v[48:49], v[220:221]
	v_add_f64 v[64:65], v[42:43], v[40:41]
	v_mul_f64 v[40:41], v[216:217], s[34:35]
	v_fma_f64 v[46:47], s[26:27], v[122:123], v[44:45]
	v_add_f64 v[68:69], v[68:69], v[70:71]
	v_mul_f64 v[108:109], v[28:29], s[36:37]
	v_fma_f64 v[164:165], v[16:17], s[18:19], -v[114:115]
	v_add_f64 v[208:209], v[208:209], v[220:221]
	v_fma_f64 v[42:43], s[12:13], v[134:135], v[40:41]
	v_add_f64 v[46:47], v[46:47], v[68:69]
	v_mul_f64 v[78:79], v[26:27], s[40:41]
	v_fma_f64 v[110:111], v[14:15], s[8:9], -v[108:109]
	v_add_f64 v[164:165], v[164:165], v[208:209]
	v_add_f64 v[70:71], v[42:43], v[46:47]
	v_mul_f64 v[42:43], v[24:25], s[34:35]
	v_fma_f64 v[68:69], v[12:13], s[26:27], -v[78:79]
	v_add_f64 v[110:111], v[110:111], v[164:165]
	v_fma_f64 v[46:47], v[8:9], s[12:13], -v[42:43]
	v_add_f64 v[68:69], v[68:69], v[110:111]
	v_add_f64 v[68:69], v[46:47], v[68:69]
	v_fma_f64 v[46:47], v[138:139], s[8:9], -v[72:73]
	v_fma_f64 v[72:73], v[212:213], s[18:19], -v[74:75]
	;; [unrolled: 1-line block ×4, first 2 shown]
	v_add_f64 v[76:77], v[50:51], v[76:77]
	v_add_f64 v[74:75], v[74:75], v[76:77]
	;; [unrolled: 1-line block ×3, first 2 shown]
	v_fma_f64 v[44:45], v[122:123], s[26:27], -v[44:45]
	v_add_f64 v[46:47], v[46:47], v[72:73]
	v_fma_f64 v[40:41], v[134:135], s[12:13], -v[40:41]
	v_add_f64 v[44:45], v[44:45], v[46:47]
	v_fmac_f64_e32 v[210:211], s[10:11], v[20:21]
	v_add_f64 v[74:75], v[40:41], v[44:45]
	v_fmac_f64_e32 v[166:167], s[16:17], v[18:19]
	;; [unrolled: 2-line block ×3, first 2 shown]
	v_add_f64 v[40:41], v[166:167], v[40:41]
	v_mul_f64 v[164:165], v[22:23], s[36:37]
	v_fmac_f64_e32 v[108:109], s[8:9], v[14:15]
	v_add_f64 v[40:41], v[114:115], v[40:41]
	s_mov_b32 s35, 0x3fedeba7
	s_mov_b32 s34, s14
	v_mul_f64 v[110:111], v[10:11], s[28:29]
	v_fma_f64 v[166:167], s[8:9], v[6:7], v[164:165]
	v_fmac_f64_e32 v[78:79], s[26:27], v[12:13]
	v_add_f64 v[40:41], v[108:109], v[40:41]
	v_mul_f64 v[108:109], v[4:5], s[34:35]
	v_fma_f64 v[114:115], s[26:27], v[2:3], v[110:111]
	v_add_f64 v[166:167], v[50:51], v[166:167]
	v_mul_f64 v[226:227], v[34:35], s[36:37]
	v_add_f64 v[40:41], v[78:79], v[40:41]
	v_mul_f64 v[86:87], v[214:215], s[24:25]
	v_fma_f64 v[78:79], s[10:11], v[212:213], v[108:109]
	v_add_f64 v[114:115], v[114:115], v[166:167]
	v_mul_f64 v[222:223], v[32:33], s[28:29]
	v_fma_f64 v[228:229], v[20:21], s[8:9], -v[226:227]
	v_fmac_f64_e32 v[42:43], s[12:13], v[8:9]
	v_mul_f64 v[44:45], v[218:219], s[30:31]
	v_fma_f64 v[76:77], s[18:19], v[138:139], v[86:87]
	v_add_f64 v[78:79], v[78:79], v[114:115]
	v_mul_f64 v[210:211], v[30:31], s[34:35]
	v_fma_f64 v[224:225], v[18:19], s[26:27], -v[222:223]
	v_add_f64 v[228:229], v[48:49], v[228:229]
	v_add_f64 v[72:73], v[42:43], v[40:41]
	v_mul_f64 v[40:41], v[216:217], s[20:21]
	v_fma_f64 v[46:47], s[12:13], v[122:123], v[44:45]
	v_add_f64 v[76:77], v[76:77], v[78:79]
	v_mul_f64 v[166:167], v[28:29], s[24:25]
	v_fma_f64 v[220:221], v[16:17], s[10:11], -v[210:211]
	v_add_f64 v[224:225], v[224:225], v[228:229]
	v_fma_f64 v[42:43], s[16:17], v[134:135], v[40:41]
	v_add_f64 v[46:47], v[46:47], v[76:77]
	v_mul_f64 v[114:115], v[26:27], s[30:31]
	v_fma_f64 v[208:209], v[14:15], s[18:19], -v[166:167]
	v_add_f64 v[220:221], v[220:221], v[224:225]
	v_add_f64 v[78:79], v[42:43], v[46:47]
	v_mul_f64 v[46:47], v[24:25], s[20:21]
	v_fma_f64 v[76:77], v[12:13], s[12:13], -v[114:115]
	v_add_f64 v[208:209], v[208:209], v[220:221]
	v_fma_f64 v[42:43], v[8:9], s[16:17], -v[46:47]
	v_add_f64 v[76:77], v[76:77], v[208:209]
	v_add_f64 v[76:77], v[42:43], v[76:77]
	v_fma_f64 v[42:43], v[122:123], s[12:13], -v[44:45]
	v_fma_f64 v[44:45], v[138:139], s[18:19], -v[86:87]
	;; [unrolled: 1-line block ×5, first 2 shown]
	v_add_f64 v[110:111], v[50:51], v[110:111]
	v_add_f64 v[108:109], v[108:109], v[110:111]
	;; [unrolled: 1-line block ×4, first 2 shown]
	v_fma_f64 v[40:41], v[134:135], s[16:17], -v[40:41]
	v_add_f64 v[42:43], v[42:43], v[44:45]
	v_fmac_f64_e32 v[226:227], s[8:9], v[20:21]
	v_add_f64 v[42:43], v[40:41], v[42:43]
	v_fmac_f64_e32 v[222:223], s[26:27], v[18:19]
	v_add_f64 v[40:41], v[48:49], v[226:227]
	v_mul_f64 v[220:221], v[22:23], s[30:31]
	v_fmac_f64_e32 v[210:211], s[10:11], v[16:17]
	v_add_f64 v[40:41], v[222:223], v[40:41]
	v_mul_f64 v[208:209], v[10:11], s[14:15]
	v_fma_f64 v[222:223], s[12:13], v[6:7], v[220:221]
	v_mul_f64 v[238:239], v[34:35], s[30:31]
	v_fmac_f64_e32 v[166:167], s[18:19], v[14:15]
	v_add_f64 v[40:41], v[210:211], v[40:41]
	v_mul_f64 v[164:165], v[4:5], s[28:29]
	v_fma_f64 v[210:211], s[10:11], v[2:3], v[208:209]
	v_add_f64 v[222:223], v[50:51], v[222:223]
	v_mul_f64 v[230:231], v[32:33], s[14:15]
	v_fma_f64 v[240:241], v[20:21], s[12:13], -v[238:239]
	v_fmac_f64_e32 v[114:115], s[12:13], v[12:13]
	v_add_f64 v[40:41], v[166:167], v[40:41]
	v_mul_f64 v[110:111], v[214:215], s[38:39]
	v_fma_f64 v[166:167], s[26:27], v[212:213], v[164:165]
	v_add_f64 v[210:211], v[210:211], v[222:223]
	v_mul_f64 v[226:227], v[30:31], s[28:29]
	v_fma_f64 v[236:237], v[18:19], s[10:11], -v[230:231]
	v_add_f64 v[240:241], v[48:49], v[240:241]
	v_fmac_f64_e32 v[46:47], s[16:17], v[8:9]
	v_add_f64 v[40:41], v[114:115], v[40:41]
	v_mul_f64 v[108:109], v[218:219], s[22:23]
	v_fma_f64 v[114:115], s[16:17], v[138:139], v[110:111]
	v_add_f64 v[166:167], v[166:167], v[210:211]
	v_mul_f64 v[222:223], v[28:29], s[38:39]
	v_fma_f64 v[228:229], v[16:17], s[26:27], -v[226:227]
	v_add_f64 v[236:237], v[236:237], v[240:241]
	v_add_f64 v[40:41], v[46:47], v[40:41]
	v_mul_f64 v[86:87], v[216:217], s[24:25]
	v_fma_f64 v[46:47], s[8:9], v[122:123], v[108:109]
	v_add_f64 v[114:115], v[114:115], v[166:167]
	v_mul_f64 v[166:167], v[26:27], s[22:23]
	v_fma_f64 v[224:225], v[14:15], s[16:17], -v[222:223]
	v_add_f64 v[228:229], v[228:229], v[236:237]
	v_fma_f64 v[44:45], s[18:19], v[134:135], v[86:87]
	v_add_f64 v[46:47], v[46:47], v[114:115]
	v_mul_f64 v[114:115], v[24:25], s[24:25]
	v_fma_f64 v[210:211], v[12:13], s[8:9], -v[166:167]
	v_add_f64 v[224:225], v[224:225], v[228:229]
	v_add_f64 v[46:47], v[44:45], v[46:47]
	v_fma_f64 v[44:45], v[8:9], s[18:19], -v[114:115]
	v_add_f64 v[210:211], v[210:211], v[224:225]
	v_add_f64 v[44:45], v[44:45], v[210:211]
	v_fma_f64 v[210:211], v[6:7], s[12:13], -v[220:221]
	v_fma_f64 v[208:209], v[2:3], s[10:11], -v[208:209]
	v_add_f64 v[210:211], v[50:51], v[210:211]
	v_fma_f64 v[164:165], v[212:213], s[26:27], -v[164:165]
	v_add_f64 v[208:209], v[208:209], v[210:211]
	;; [unrolled: 2-line block ×5, first 2 shown]
	v_fmac_f64_e32 v[238:239], s[12:13], v[20:21]
	v_add_f64 v[0:1], v[50:51], v[0:1]
	v_add_f64 v[110:111], v[86:87], v[108:109]
	v_fmac_f64_e32 v[230:231], s[10:11], v[18:19]
	v_add_f64 v[86:87], v[48:49], v[238:239]
	v_add_f64 v[0:1], v[0:1], v[126:127]
	;; [unrolled: 3-line block ×3, first 2 shown]
	v_fmac_f64_e32 v[222:223], s[16:17], v[14:15]
	v_add_f64 v[86:87], v[226:227], v[86:87]
	s_mov_b32 s25, 0xbfddbe06
	v_add_f64 v[0:1], v[0:1], v[106:107]
	v_fmac_f64_e32 v[166:167], s[8:9], v[12:13]
	v_add_f64 v[86:87], v[222:223], v[86:87]
	v_mul_f64 v[22:23], v[22:23], s[24:25]
	v_add_f64 v[0:1], v[0:1], v[130:131]
	v_fmac_f64_e32 v[114:115], s[18:19], v[8:9]
	v_add_f64 v[86:87], v[166:167], v[86:87]
	v_mul_f64 v[208:209], v[218:219], s[20:21]
	v_mul_f64 v[10:11], v[10:11], s[30:31]
	v_fma_f64 v[218:219], s[18:19], v[6:7], v[22:23]
	v_add_f64 v[0:1], v[0:1], v[132:133]
	v_add_f64 v[108:109], v[114:115], v[86:87]
	v_mul_f64 v[86:87], v[216:217], s[28:29]
	v_mul_f64 v[4:5], v[4:5], s[36:37]
	v_fma_f64 v[216:217], s[12:13], v[2:3], v[10:11]
	v_add_f64 v[218:219], v[50:51], v[218:219]
	v_add_f64 v[0:1], v[0:1], v[128:129]
	v_mul_f64 v[210:211], v[214:215], s[14:15]
	v_fma_f64 v[214:215], s[8:9], v[212:213], v[4:5]
	v_add_f64 v[216:217], v[216:217], v[218:219]
	v_add_f64 v[0:1], v[0:1], v[120:121]
	v_fma_f64 v[166:167], s[10:11], v[138:139], v[210:211]
	v_add_f64 v[214:215], v[214:215], v[216:217]
	v_add_f64 v[0:1], v[0:1], v[82:83]
	;; [unrolled: 3-line block ×3, first 2 shown]
	v_fma_f64 v[114:115], s[26:27], v[134:135], v[86:87]
	v_add_f64 v[164:165], v[164:165], v[166:167]
	v_mul_f64 v[24:25], v[24:25], s[28:29]
	v_mul_f64 v[34:35], v[34:35], s[24:25]
	v_add_f64 v[0:1], v[0:1], v[98:99]
	v_add_f64 v[166:167], v[114:115], v[164:165]
	v_fma_f64 v[114:115], v[8:9], s[26:27], -v[24:25]
	v_mul_f64 v[32:33], v[32:33], s[30:31]
	v_fma_f64 v[220:221], v[20:21], s[18:19], -v[34:35]
	v_fmac_f64_e32 v[24:25], s[26:27], v[8:9]
	v_add_f64 v[8:9], v[0:1], v[84:85]
	v_add_f64 v[0:1], v[48:49], v[112:113]
	v_mul_f64 v[30:31], v[30:31], s[36:37]
	v_fma_f64 v[218:219], v[18:19], s[12:13], -v[32:33]
	v_add_f64 v[220:221], v[48:49], v[220:221]
	v_add_f64 v[0:1], v[0:1], v[124:125]
	v_mul_f64 v[28:29], v[28:29], s[14:15]
	v_fma_f64 v[216:217], v[16:17], s[8:9], -v[30:31]
	;; [unrolled: 4-line block ×3, first 2 shown]
	v_add_f64 v[216:217], v[216:217], v[218:219]
	v_fma_f64 v[6:7], v[6:7], s[18:19], -v[22:23]
	v_add_f64 v[0:1], v[0:1], v[118:119]
	v_fma_f64 v[164:165], v[12:13], s[16:17], -v[26:27]
	;; [unrolled: 2-line block ×3, first 2 shown]
	v_add_f64 v[6:7], v[50:51], v[6:7]
	v_add_f64 v[0:1], v[0:1], v[88:89]
	;; [unrolled: 1-line block ×3, first 2 shown]
	v_fma_f64 v[4:5], v[212:213], s[8:9], -v[4:5]
	v_add_f64 v[2:3], v[2:3], v[6:7]
	v_add_f64 v[0:1], v[0:1], v[92:93]
	;; [unrolled: 1-line block ×3, first 2 shown]
	v_fma_f64 v[114:115], v[122:123], s[16:17], -v[208:209]
	v_fma_f64 v[122:123], v[138:139], s[10:11], -v[210:211]
	v_add_f64 v[2:3], v[4:5], v[2:3]
	v_add_f64 v[0:1], v[0:1], v[94:95]
	;; [unrolled: 1-line block ×4, first 2 shown]
	v_fma_f64 v[86:87], v[134:135], s[26:27], -v[86:87]
	v_add_f64 v[2:3], v[114:115], v[2:3]
	v_fmac_f64_e32 v[34:35], s[18:19], v[20:21]
	v_add_f64 v[0:1], v[0:1], v[116:117]
	v_add_f64 v[4:5], v[86:87], v[2:3]
	v_fmac_f64_e32 v[32:33], s[12:13], v[18:19]
	v_add_f64 v[2:3], v[48:49], v[34:35]
	;; [unrolled: 3-line block ×4, first 2 shown]
	v_add_f64 v[6:7], v[0:1], v[96:97]
	v_accvgpr_read_b32 v0, a21
	v_fmac_f64_e32 v[26:27], s[16:17], v[12:13]
	v_add_f64 v[2:3], v[28:29], v[2:3]
	v_mul_u32_u24_e32 v0, 0x9c, v0
	v_accvgpr_read_b32 v1, a50
	v_add_f64 v[2:3], v[26:27], v[2:3]
	v_add_lshl_u32 v0, v0, v1, 4
	v_add_f64 v[2:3], v[24:25], v[2:3]
	ds_write_b128 v0, v[6:9]
	ds_write_b128 v0, v[2:5] offset:192
	ds_write_b128 v0, v[108:111] offset:384
	;; [unrolled: 1-line block ×12, first 2 shown]
.LBB0_9:
	s_or_b64 exec, exec, s[0:1]
	s_waitcnt lgkmcnt(0)
	s_barrier
	ds_read_b128 v[48:51], v232
	ds_read_b128 v[52:55], v232 offset:1872
	ds_read_b128 v[0:3], v232 offset:7488
	;; [unrolled: 1-line block ×11, first 2 shown]
	s_waitcnt lgkmcnt(9)
	v_mul_f64 v[32:33], v[146:147], v[2:3]
	v_fmac_f64_e32 v[32:33], v[144:145], v[0:1]
	v_mul_f64 v[0:1], v[146:147], v[0:1]
	v_fma_f64 v[34:35], v[144:145], v[2:3], -v[0:1]
	s_waitcnt lgkmcnt(7)
	v_mul_f64 v[40:41], v[142:143], v[10:11]
	v_mul_f64 v[0:1], v[142:143], v[8:9]
	v_fmac_f64_e32 v[40:41], v[140:141], v[8:9]
	v_fma_f64 v[8:9], v[140:141], v[10:11], -v[0:1]
	v_mul_f64 v[0:1], v[154:155], v[4:5]
	v_fma_f64 v[44:45], v[152:153], v[6:7], -v[0:1]
	s_waitcnt lgkmcnt(6)
	v_mul_f64 v[0:1], v[150:151], v[12:13]
	v_mul_f64 v[46:47], v[150:151], v[14:15]
	v_fma_f64 v[14:15], v[148:149], v[14:15], -v[0:1]
	s_waitcnt lgkmcnt(3)
	v_mul_f64 v[0:1], v[162:163], v[16:17]
	v_accvgpr_read_b32 v82, a20
	v_fma_f64 v[72:73], v[160:161], v[18:19], -v[0:1]
	s_waitcnt lgkmcnt(1)
	v_mul_f64 v[74:75], v[158:159], v[26:27]
	v_mul_f64 v[0:1], v[158:159], v[24:25]
	v_mad_u64_u32 v[66:67], s[0:1], s6, v82, 0
	v_fmac_f64_e32 v[74:75], v[156:157], v[24:25]
	v_fma_f64 v[24:25], v[156:157], v[26:27], -v[0:1]
	v_mul_f64 v[0:1], v[174:175], v[20:21]
	v_fma_f64 v[78:79], v[172:173], v[22:23], -v[0:1]
	s_waitcnt lgkmcnt(0)
	v_mul_f64 v[0:1], v[170:171], v[28:29]
	v_add_f64 v[2:3], v[32:33], v[40:41]
	s_mov_b32 s0, 0xe8584caa
	v_mov_b32_e32 v64, s2
	v_mov_b32_e32 v65, s3
	v_mul_f64 v[42:43], v[154:155], v[6:7]
	v_mul_f64 v[80:81], v[170:171], v[30:31]
	v_fma_f64 v[30:31], v[168:169], v[30:31], -v[0:1]
	v_add_f64 v[0:1], v[48:49], v[32:33]
	v_fmac_f64_e32 v[48:49], -0.5, v[2:3]
	v_add_f64 v[2:3], v[34:35], -v[8:9]
	s_mov_b32 s1, 0xbfebb67a
	s_mov_b32 s3, 0x3febb67a
	;; [unrolled: 1-line block ×3, first 2 shown]
	v_fmac_f64_e32 v[42:43], v[152:153], v[4:5]
	v_fmac_f64_e32 v[46:47], v[148:149], v[12:13]
	v_fma_f64 v[4:5], s[0:1], v[2:3], v[48:49]
	v_fmac_f64_e32 v[48:49], s[2:3], v[2:3]
	v_add_f64 v[2:3], v[50:51], v[34:35]
	v_add_f64 v[6:7], v[34:35], v[8:9]
	;; [unrolled: 1-line block ×3, first 2 shown]
	v_fmac_f64_e32 v[50:51], -0.5, v[6:7]
	v_add_f64 v[8:9], v[32:33], -v[40:41]
	v_add_f64 v[10:11], v[42:43], v[46:47]
	v_fma_f64 v[6:7], s[2:3], v[8:9], v[50:51]
	v_fmac_f64_e32 v[50:51], s[0:1], v[8:9]
	v_add_f64 v[8:9], v[52:53], v[42:43]
	v_fmac_f64_e32 v[52:53], -0.5, v[10:11]
	v_add_f64 v[10:11], v[44:45], -v[14:15]
	v_mul_f64 v[70:71], v[162:163], v[18:19]
	v_fma_f64 v[12:13], s[0:1], v[10:11], v[52:53]
	v_fmac_f64_e32 v[52:53], s[2:3], v[10:11]
	v_add_f64 v[10:11], v[54:55], v[44:45]
	v_fmac_f64_e32 v[70:71], v[160:161], v[16:17]
	v_add_f64 v[10:11], v[10:11], v[14:15]
	v_add_f64 v[14:15], v[44:45], v[14:15]
	v_fmac_f64_e32 v[54:55], -0.5, v[14:15]
	v_add_f64 v[16:17], v[42:43], -v[46:47]
	v_add_f64 v[18:19], v[70:71], v[74:75]
	v_mul_f64 v[76:77], v[174:175], v[22:23]
	v_fma_f64 v[14:15], s[2:3], v[16:17], v[54:55]
	v_fmac_f64_e32 v[54:55], s[0:1], v[16:17]
	v_add_f64 v[16:17], v[56:57], v[70:71]
	v_fmac_f64_e32 v[56:57], -0.5, v[18:19]
	v_add_f64 v[18:19], v[72:73], -v[24:25]
	v_fmac_f64_e32 v[76:77], v[172:173], v[20:21]
	v_fmac_f64_e32 v[80:81], v[168:169], v[28:29]
	v_fma_f64 v[20:21], s[0:1], v[18:19], v[56:57]
	v_fmac_f64_e32 v[56:57], s[2:3], v[18:19]
	v_add_f64 v[18:19], v[58:59], v[72:73]
	v_add_f64 v[22:23], v[72:73], v[24:25]
	;; [unrolled: 1-line block ×3, first 2 shown]
	v_fmac_f64_e32 v[58:59], -0.5, v[22:23]
	v_add_f64 v[24:25], v[70:71], -v[74:75]
	v_add_f64 v[26:27], v[76:77], v[80:81]
	v_fma_f64 v[22:23], s[2:3], v[24:25], v[58:59]
	v_fmac_f64_e32 v[58:59], s[0:1], v[24:25]
	v_add_f64 v[24:25], v[60:61], v[76:77]
	v_fmac_f64_e32 v[60:61], -0.5, v[26:27]
	v_add_f64 v[26:27], v[78:79], -v[30:31]
	v_fma_f64 v[28:29], s[0:1], v[26:27], v[60:61]
	v_fmac_f64_e32 v[60:61], s[2:3], v[26:27]
	v_add_f64 v[26:27], v[62:63], v[78:79]
	v_add_f64 v[26:27], v[26:27], v[30:31]
	;; [unrolled: 1-line block ×3, first 2 shown]
	v_fmac_f64_e32 v[62:63], -0.5, v[30:31]
	v_add_f64 v[32:33], v[76:77], -v[80:81]
	v_add_f64 v[0:1], v[0:1], v[40:41]
	v_add_f64 v[8:9], v[8:9], v[46:47]
	;; [unrolled: 1-line block ×4, first 2 shown]
	v_fma_f64 v[30:31], s[2:3], v[32:33], v[62:63]
	v_fmac_f64_e32 v[62:63], s[0:1], v[32:33]
	s_barrier
	ds_write_b128 v232, v[0:3]
	ds_write_b128 v232, v[4:7] offset:2496
	ds_write_b128 v232, v[48:51] offset:4992
	ds_write_b128 v36, v[8:11]
	ds_write_b128 v36, v[12:15] offset:2496
	ds_write_b128 v36, v[52:55] offset:4992
	;; [unrolled: 3-line block ×3, first 2 shown]
	ds_write_b128 v38, v[24:27] offset:14976
	ds_write_b128 v38, v[28:31] offset:17472
	;; [unrolled: 1-line block ×3, first 2 shown]
	s_waitcnt lgkmcnt(0)
	s_barrier
	ds_read_b128 v[48:51], v232
	ds_read_b128 v[52:55], v232 offset:1872
	ds_read_b128 v[0:3], v232 offset:7488
	;; [unrolled: 1-line block ×11, first 2 shown]
	s_waitcnt lgkmcnt(9)
	v_mul_f64 v[36:37], v[178:179], v[2:3]
	v_fmac_f64_e32 v[36:37], v[176:177], v[0:1]
	v_mul_f64 v[0:1], v[178:179], v[0:1]
	v_fma_f64 v[38:39], v[176:177], v[2:3], -v[0:1]
	s_waitcnt lgkmcnt(7)
	v_mul_f64 v[40:41], v[182:183], v[10:11]
	v_mul_f64 v[0:1], v[182:183], v[8:9]
	v_fmac_f64_e32 v[40:41], v[180:181], v[8:9]
	v_fma_f64 v[8:9], v[180:181], v[10:11], -v[0:1]
	v_mul_f64 v[0:1], v[186:187], v[4:5]
	v_fma_f64 v[44:45], v[184:185], v[6:7], -v[0:1]
	s_waitcnt lgkmcnt(6)
	v_mul_f64 v[0:1], v[190:191], v[12:13]
	v_mul_f64 v[46:47], v[190:191], v[14:15]
	v_fma_f64 v[14:15], v[188:189], v[14:15], -v[0:1]
	s_waitcnt lgkmcnt(3)
	v_mul_f64 v[0:1], v[194:195], v[20:21]
	v_fma_f64 v[62:63], v[192:193], v[22:23], -v[0:1]
	s_waitcnt lgkmcnt(1)
	v_mul_f64 v[70:71], v[198:199], v[30:31]
	v_mul_f64 v[0:1], v[198:199], v[28:29]
	v_fmac_f64_e32 v[70:71], v[196:197], v[28:29]
	v_fma_f64 v[28:29], v[196:197], v[30:31], -v[0:1]
	v_mul_f64 v[0:1], v[202:203], v[24:25]
	v_fma_f64 v[74:75], v[200:201], v[26:27], -v[0:1]
	s_waitcnt lgkmcnt(0)
	v_mul_f64 v[0:1], v[206:207], v[32:33]
	v_add_f64 v[2:3], v[36:37], v[40:41]
	v_mul_f64 v[42:43], v[186:187], v[6:7]
	v_mul_f64 v[76:77], v[206:207], v[34:35]
	v_fma_f64 v[34:35], v[204:205], v[34:35], -v[0:1]
	v_add_f64 v[0:1], v[48:49], v[36:37]
	v_fmac_f64_e32 v[48:49], -0.5, v[2:3]
	v_add_f64 v[2:3], v[38:39], -v[8:9]
	v_fmac_f64_e32 v[42:43], v[184:185], v[4:5]
	v_fmac_f64_e32 v[46:47], v[188:189], v[12:13]
	v_fma_f64 v[4:5], s[0:1], v[2:3], v[48:49]
	v_fmac_f64_e32 v[48:49], s[2:3], v[2:3]
	v_add_f64 v[2:3], v[50:51], v[38:39]
	v_add_f64 v[6:7], v[38:39], v[8:9]
	;; [unrolled: 1-line block ×3, first 2 shown]
	v_fmac_f64_e32 v[50:51], -0.5, v[6:7]
	v_add_f64 v[8:9], v[36:37], -v[40:41]
	v_add_f64 v[10:11], v[42:43], v[46:47]
	v_fma_f64 v[6:7], s[2:3], v[8:9], v[50:51]
	v_fmac_f64_e32 v[50:51], s[0:1], v[8:9]
	v_add_f64 v[8:9], v[52:53], v[42:43]
	v_fmac_f64_e32 v[52:53], -0.5, v[10:11]
	v_add_f64 v[10:11], v[44:45], -v[14:15]
	v_mul_f64 v[60:61], v[194:195], v[22:23]
	v_fma_f64 v[12:13], s[0:1], v[10:11], v[52:53]
	v_fmac_f64_e32 v[52:53], s[2:3], v[10:11]
	v_add_f64 v[10:11], v[54:55], v[44:45]
	v_fmac_f64_e32 v[60:61], v[192:193], v[20:21]
	v_add_f64 v[10:11], v[10:11], v[14:15]
	v_add_f64 v[14:15], v[44:45], v[14:15]
	v_fmac_f64_e32 v[54:55], -0.5, v[14:15]
	v_add_f64 v[20:21], v[42:43], -v[46:47]
	v_add_f64 v[22:23], v[60:61], v[70:71]
	v_mul_f64 v[72:73], v[202:203], v[26:27]
	v_fma_f64 v[14:15], s[2:3], v[20:21], v[54:55]
	v_fmac_f64_e32 v[54:55], s[0:1], v[20:21]
	v_add_f64 v[20:21], v[56:57], v[60:61]
	v_fmac_f64_e32 v[56:57], -0.5, v[22:23]
	v_add_f64 v[22:23], v[62:63], -v[28:29]
	v_fmac_f64_e32 v[72:73], v[200:201], v[24:25]
	v_fmac_f64_e32 v[76:77], v[204:205], v[32:33]
	v_fma_f64 v[24:25], s[0:1], v[22:23], v[56:57]
	v_fmac_f64_e32 v[56:57], s[2:3], v[22:23]
	v_add_f64 v[22:23], v[58:59], v[62:63]
	v_add_f64 v[26:27], v[62:63], v[28:29]
	;; [unrolled: 1-line block ×3, first 2 shown]
	v_fmac_f64_e32 v[58:59], -0.5, v[26:27]
	v_add_f64 v[28:29], v[60:61], -v[70:71]
	v_add_f64 v[30:31], v[72:73], v[76:77]
	v_fma_f64 v[26:27], s[2:3], v[28:29], v[58:59]
	v_fmac_f64_e32 v[58:59], s[0:1], v[28:29]
	v_add_f64 v[28:29], v[16:17], v[72:73]
	v_fmac_f64_e32 v[16:17], -0.5, v[30:31]
	v_add_f64 v[30:31], v[74:75], -v[34:35]
	v_fma_f64 v[32:33], s[0:1], v[30:31], v[16:17]
	v_fmac_f64_e32 v[16:17], s[2:3], v[30:31]
	v_add_f64 v[30:31], v[18:19], v[74:75]
	v_add_f64 v[30:31], v[30:31], v[34:35]
	;; [unrolled: 1-line block ×4, first 2 shown]
	v_fmac_f64_e32 v[18:19], -0.5, v[34:35]
	v_add_f64 v[36:37], v[72:73], -v[76:77]
	v_add_f64 v[8:9], v[8:9], v[46:47]
	v_add_f64 v[20:21], v[20:21], v[70:71]
	v_add_f64 v[28:29], v[28:29], v[76:77]
	v_fma_f64 v[34:35], s[2:3], v[36:37], v[18:19]
	v_fmac_f64_e32 v[18:19], s[0:1], v[36:37]
	ds_write_b128 v232, v[0:3]
	ds_write_b128 v232, v[4:7] offset:7488
	ds_write_b128 v232, v[48:51] offset:14976
	;; [unrolled: 1-line block ×11, first 2 shown]
	s_waitcnt lgkmcnt(0)
	s_barrier
	ds_read_b128 v[0:3], v232
	v_mov_b32_e32 v68, v67
	v_accvgpr_read_b32 v10, a42
	v_mad_u64_u32 v[4:5], s[0:1], s7, v82, v[68:69]
	v_accvgpr_read_b32 v12, a44
	v_accvgpr_read_b32 v13, a45
	v_mov_b32_e32 v67, v4
	ds_read_b128 v[4:7], v232 offset:1872
	v_accvgpr_read_b32 v11, a43
	s_waitcnt lgkmcnt(1)
	v_mul_f64 v[8:9], v[12:13], v[2:3]
	v_fmac_f64_e32 v[8:9], v[10:11], v[0:1]
	s_mov_b32 s0, 0xc201756d
	v_mul_f64 v[0:1], v[12:13], v[0:1]
	s_mov_b32 s1, 0x3f4756ca
	v_fma_f64 v[0:1], v[10:11], v[2:3], -v[0:1]
	v_mad_u64_u32 v[12:13], s[2:3], s4, v234, 0
	v_mul_f64 v[10:11], v[0:1], s[0:1]
	v_mov_b32_e32 v0, v13
	v_mad_u64_u32 v[0:1], s[2:3], s5, v234, v[0:1]
	v_mov_b32_e32 v13, v0
	ds_read_b128 v[0:3], v232 offset:11232
	v_lshl_add_u64 v[14:15], v[66:67], 4, v[64:65]
	v_accvgpr_read_b32 v21, a3
	v_mul_f64 v[8:9], v[8:9], s[0:1]
	v_lshl_add_u64 v[16:17], v[12:13], 4, v[14:15]
	v_accvgpr_read_b32 v20, a2
	global_store_dwordx4 v[16:17], v[8:11], off
	ds_read_b128 v[8:11], v232 offset:13104
	v_accvgpr_read_b32 v19, a1
	v_accvgpr_read_b32 v18, a0
	s_waitcnt lgkmcnt(1)
	v_mul_f64 v[12:13], v[20:21], v[2:3]
	v_fmac_f64_e32 v[12:13], v[18:19], v[0:1]
	v_mul_f64 v[0:1], v[20:21], v[0:1]
	v_fma_f64 v[0:1], v[18:19], v[2:3], -v[0:1]
	v_mov_b32_e32 v18, 0x2be0
	v_mad_u64_u32 v[16:17], s[2:3], s4, v18, v[16:17]
	s_mul_i32 s2, s5, 0x2be0
	v_mul_f64 v[12:13], v[12:13], s[0:1]
	v_mul_f64 v[14:15], v[0:1], s[0:1]
	v_add_u32_e32 v17, s2, v17
	global_store_dwordx4 v[16:17], v[12:15], off
	v_mov_b32_e32 v19, 0xffffdb70
	s_mul_i32 s3, s5, 0xffffdb70
	v_accvgpr_read_b32 v12, a22
	v_accvgpr_read_b32 v14, a24
	;; [unrolled: 1-line block ×4, first 2 shown]
	v_mul_f64 v[0:1], v[14:15], v[6:7]
	v_mul_f64 v[2:3], v[14:15], v[4:5]
	v_fmac_f64_e32 v[0:1], v[12:13], v[4:5]
	v_fma_f64 v[2:3], v[12:13], v[6:7], -v[2:3]
	v_mad_u64_u32 v[12:13], s[6:7], s4, v19, v[16:17]
	s_sub_i32 s3, s3, s4
	v_accvgpr_read_b32 v4, a46
	v_mul_f64 v[0:1], v[0:1], s[0:1]
	v_mul_f64 v[2:3], v[2:3], s[0:1]
	v_add_u32_e32 v13, s3, v13
	v_accvgpr_read_b32 v6, a48
	v_accvgpr_read_b32 v7, a49
	global_store_dwordx4 v[12:13], v[0:3], off
	v_accvgpr_read_b32 v5, a47
	v_mad_u64_u32 v[12:13], s[6:7], s4, v18, v[12:13]
	s_waitcnt lgkmcnt(0)
	v_mul_f64 v[0:1], v[6:7], v[10:11]
	v_mul_f64 v[2:3], v[6:7], v[8:9]
	v_fmac_f64_e32 v[0:1], v[4:5], v[8:9]
	v_fma_f64 v[2:3], v[4:5], v[10:11], -v[2:3]
	ds_read_b128 v[4:7], v232 offset:3744
	v_accvgpr_read_b32 v17, a11
	v_mul_f64 v[0:1], v[0:1], s[0:1]
	v_mul_f64 v[2:3], v[2:3], s[0:1]
	v_add_u32_e32 v13, s2, v13
	v_accvgpr_read_b32 v16, a10
	global_store_dwordx4 v[12:13], v[0:3], off
	ds_read_b128 v[0:3], v232 offset:5616
	v_accvgpr_read_b32 v15, a9
	v_accvgpr_read_b32 v14, a8
	s_waitcnt lgkmcnt(1)
	v_mul_f64 v[8:9], v[16:17], v[6:7]
	v_fmac_f64_e32 v[8:9], v[14:15], v[4:5]
	v_mul_f64 v[4:5], v[16:17], v[4:5]
	v_fma_f64 v[4:5], v[14:15], v[6:7], -v[4:5]
	v_mul_f64 v[10:11], v[4:5], s[0:1]
	ds_read_b128 v[4:7], v232 offset:14976
	v_mad_u64_u32 v[16:17], s[6:7], s4, v19, v[12:13]
	v_accvgpr_read_b32 v23, a7
	v_mul_f64 v[8:9], v[8:9], s[0:1]
	v_add_u32_e32 v17, s3, v17
	v_accvgpr_read_b32 v22, a6
	global_store_dwordx4 v[16:17], v[8:11], off
	ds_read_b128 v[8:11], v232 offset:16848
	v_accvgpr_read_b32 v21, a5
	v_accvgpr_read_b32 v20, a4
	s_waitcnt lgkmcnt(1)
	v_mul_f64 v[12:13], v[22:23], v[6:7]
	v_fmac_f64_e32 v[12:13], v[20:21], v[4:5]
	v_mul_f64 v[4:5], v[22:23], v[4:5]
	v_fma_f64 v[4:5], v[20:21], v[6:7], -v[4:5]
	v_mad_u64_u32 v[16:17], s[6:7], s4, v18, v[16:17]
	v_mul_f64 v[12:13], v[12:13], s[0:1]
	v_mul_f64 v[14:15], v[4:5], s[0:1]
	v_add_u32_e32 v17, s2, v17
	global_store_dwordx4 v[16:17], v[12:15], off
	v_accvgpr_read_b32 v23, a15
	v_accvgpr_read_b32 v22, a14
	;; [unrolled: 1-line block ×6, first 2 shown]
	v_mul_f64 v[4:5], v[14:15], v[2:3]
	v_fmac_f64_e32 v[4:5], v[12:13], v[0:1]
	v_mul_f64 v[0:1], v[14:15], v[0:1]
	v_fma_f64 v[0:1], v[12:13], v[2:3], -v[0:1]
	v_mad_u64_u32 v[12:13], s[6:7], s4, v19, v[16:17]
	v_mul_f64 v[4:5], v[4:5], s[0:1]
	v_mul_f64 v[6:7], v[0:1], s[0:1]
	v_add_u32_e32 v13, s3, v13
	global_store_dwordx4 v[12:13], v[4:7], off
	v_mad_u64_u32 v[12:13], s[6:7], s4, v18, v[12:13]
	s_nop 0
	v_accvgpr_read_b32 v4, a38
	v_accvgpr_read_b32 v6, a40
	;; [unrolled: 1-line block ×4, first 2 shown]
	s_waitcnt lgkmcnt(0)
	v_mul_f64 v[0:1], v[6:7], v[10:11]
	v_mul_f64 v[2:3], v[6:7], v[8:9]
	v_fmac_f64_e32 v[0:1], v[4:5], v[8:9]
	v_fma_f64 v[2:3], v[4:5], v[10:11], -v[2:3]
	ds_read_b128 v[4:7], v232 offset:7488
	v_accvgpr_read_b32 v14, a16
	v_mul_f64 v[0:1], v[0:1], s[0:1]
	v_mul_f64 v[2:3], v[2:3], s[0:1]
	v_add_u32_e32 v13, s2, v13
	v_accvgpr_read_b32 v16, a18
	v_accvgpr_read_b32 v17, a19
	global_store_dwordx4 v[12:13], v[0:3], off
	ds_read_b128 v[0:3], v232 offset:9360
	v_accvgpr_read_b32 v15, a17
	s_waitcnt lgkmcnt(1)
	v_mul_f64 v[8:9], v[16:17], v[6:7]
	v_fmac_f64_e32 v[8:9], v[14:15], v[4:5]
	v_mul_f64 v[4:5], v[16:17], v[4:5]
	v_fma_f64 v[4:5], v[14:15], v[6:7], -v[4:5]
	v_mul_f64 v[10:11], v[4:5], s[0:1]
	ds_read_b128 v[4:7], v232 offset:18720
	v_mad_u64_u32 v[16:17], s[6:7], s4, v19, v[12:13]
	v_mul_f64 v[8:9], v[8:9], s[0:1]
	v_add_u32_e32 v17, s3, v17
	global_store_dwordx4 v[16:17], v[8:11], off
	ds_read_b128 v[8:11], v232 offset:20592
	v_accvgpr_read_b32 v21, a13
	v_accvgpr_read_b32 v20, a12
	s_waitcnt lgkmcnt(1)
	v_mul_f64 v[12:13], v[22:23], v[6:7]
	v_fmac_f64_e32 v[12:13], v[20:21], v[4:5]
	v_mul_f64 v[4:5], v[22:23], v[4:5]
	v_fma_f64 v[4:5], v[20:21], v[6:7], -v[4:5]
	v_mad_u64_u32 v[16:17], s[6:7], s4, v18, v[16:17]
	v_mul_f64 v[12:13], v[12:13], s[0:1]
	v_mul_f64 v[14:15], v[4:5], s[0:1]
	v_add_u32_e32 v17, s2, v17
	global_store_dwordx4 v[16:17], v[12:15], off
	s_nop 1
	v_accvgpr_read_b32 v12, a26
	v_accvgpr_read_b32 v14, a28
	;; [unrolled: 1-line block ×4, first 2 shown]
	v_mul_f64 v[4:5], v[14:15], v[2:3]
	v_fmac_f64_e32 v[4:5], v[12:13], v[0:1]
	v_mul_f64 v[0:1], v[14:15], v[0:1]
	v_fma_f64 v[0:1], v[12:13], v[2:3], -v[0:1]
	v_mad_u64_u32 v[12:13], s[6:7], s4, v19, v[16:17]
	v_mul_f64 v[4:5], v[4:5], s[0:1]
	v_mul_f64 v[6:7], v[0:1], s[0:1]
	v_add_u32_e32 v13, s3, v13
	global_store_dwordx4 v[12:13], v[4:7], off
	s_nop 1
	v_accvgpr_read_b32 v4, a34
	v_accvgpr_read_b32 v6, a36
	v_accvgpr_read_b32 v7, a37
	v_accvgpr_read_b32 v5, a35
	s_waitcnt lgkmcnt(0)
	v_mul_f64 v[0:1], v[6:7], v[10:11]
	v_mul_f64 v[2:3], v[6:7], v[8:9]
	v_fmac_f64_e32 v[0:1], v[4:5], v[8:9]
	v_fma_f64 v[2:3], v[4:5], v[10:11], -v[2:3]
	v_mul_f64 v[0:1], v[0:1], s[0:1]
	v_mul_f64 v[2:3], v[2:3], s[0:1]
	v_mad_u64_u32 v[4:5], s[0:1], s4, v18, v[12:13]
	v_add_u32_e32 v5, s2, v5
	global_store_dwordx4 v[4:5], v[0:3], off
.LBB0_10:
	s_endpgm
	.section	.rodata,"a",@progbits
	.p2align	6, 0x0
	.amdhsa_kernel bluestein_single_back_len1404_dim1_dp_op_CI_CI
		.amdhsa_group_segment_fixed_size 22464
		.amdhsa_private_segment_fixed_size 0
		.amdhsa_kernarg_size 104
		.amdhsa_user_sgpr_count 2
		.amdhsa_user_sgpr_dispatch_ptr 0
		.amdhsa_user_sgpr_queue_ptr 0
		.amdhsa_user_sgpr_kernarg_segment_ptr 1
		.amdhsa_user_sgpr_dispatch_id 0
		.amdhsa_user_sgpr_kernarg_preload_length 0
		.amdhsa_user_sgpr_kernarg_preload_offset 0
		.amdhsa_user_sgpr_private_segment_size 0
		.amdhsa_uses_dynamic_stack 0
		.amdhsa_enable_private_segment 0
		.amdhsa_system_sgpr_workgroup_id_x 1
		.amdhsa_system_sgpr_workgroup_id_y 0
		.amdhsa_system_sgpr_workgroup_id_z 0
		.amdhsa_system_sgpr_workgroup_info 0
		.amdhsa_system_vgpr_workitem_id 0
		.amdhsa_next_free_vgpr 388
		.amdhsa_next_free_sgpr 50
		.amdhsa_accum_offset 256
		.amdhsa_reserve_vcc 1
		.amdhsa_float_round_mode_32 0
		.amdhsa_float_round_mode_16_64 0
		.amdhsa_float_denorm_mode_32 3
		.amdhsa_float_denorm_mode_16_64 3
		.amdhsa_dx10_clamp 1
		.amdhsa_ieee_mode 1
		.amdhsa_fp16_overflow 0
		.amdhsa_tg_split 0
		.amdhsa_exception_fp_ieee_invalid_op 0
		.amdhsa_exception_fp_denorm_src 0
		.amdhsa_exception_fp_ieee_div_zero 0
		.amdhsa_exception_fp_ieee_overflow 0
		.amdhsa_exception_fp_ieee_underflow 0
		.amdhsa_exception_fp_ieee_inexact 0
		.amdhsa_exception_int_div_zero 0
	.end_amdhsa_kernel
	.text
.Lfunc_end0:
	.size	bluestein_single_back_len1404_dim1_dp_op_CI_CI, .Lfunc_end0-bluestein_single_back_len1404_dim1_dp_op_CI_CI
                                        ; -- End function
	.section	.AMDGPU.csdata,"",@progbits
; Kernel info:
; codeLenInByte = 21520
; NumSgprs: 56
; NumVgprs: 256
; NumAgprs: 132
; TotalNumVgprs: 388
; ScratchSize: 0
; MemoryBound: 0
; FloatMode: 240
; IeeeMode: 1
; LDSByteSize: 22464 bytes/workgroup (compile time only)
; SGPRBlocks: 6
; VGPRBlocks: 48
; NumSGPRsForWavesPerEU: 56
; NumVGPRsForWavesPerEU: 388
; AccumOffset: 256
; Occupancy: 1
; WaveLimiterHint : 1
; COMPUTE_PGM_RSRC2:SCRATCH_EN: 0
; COMPUTE_PGM_RSRC2:USER_SGPR: 2
; COMPUTE_PGM_RSRC2:TRAP_HANDLER: 0
; COMPUTE_PGM_RSRC2:TGID_X_EN: 1
; COMPUTE_PGM_RSRC2:TGID_Y_EN: 0
; COMPUTE_PGM_RSRC2:TGID_Z_EN: 0
; COMPUTE_PGM_RSRC2:TIDIG_COMP_CNT: 0
; COMPUTE_PGM_RSRC3_GFX90A:ACCUM_OFFSET: 63
; COMPUTE_PGM_RSRC3_GFX90A:TG_SPLIT: 0
	.text
	.p2alignl 6, 3212836864
	.fill 256, 4, 3212836864
	.type	__hip_cuid_3d4c012841677a87,@object ; @__hip_cuid_3d4c012841677a87
	.section	.bss,"aw",@nobits
	.globl	__hip_cuid_3d4c012841677a87
__hip_cuid_3d4c012841677a87:
	.byte	0                               ; 0x0
	.size	__hip_cuid_3d4c012841677a87, 1

	.ident	"AMD clang version 19.0.0git (https://github.com/RadeonOpenCompute/llvm-project roc-6.4.0 25133 c7fe45cf4b819c5991fe208aaa96edf142730f1d)"
	.section	".note.GNU-stack","",@progbits
	.addrsig
	.addrsig_sym __hip_cuid_3d4c012841677a87
	.amdgpu_metadata
---
amdhsa.kernels:
  - .agpr_count:     132
    .args:
      - .actual_access:  read_only
        .address_space:  global
        .offset:         0
        .size:           8
        .value_kind:     global_buffer
      - .actual_access:  read_only
        .address_space:  global
        .offset:         8
        .size:           8
        .value_kind:     global_buffer
      - .actual_access:  read_only
        .address_space:  global
        .offset:         16
        .size:           8
        .value_kind:     global_buffer
      - .actual_access:  read_only
        .address_space:  global
        .offset:         24
        .size:           8
        .value_kind:     global_buffer
      - .actual_access:  read_only
        .address_space:  global
        .offset:         32
        .size:           8
        .value_kind:     global_buffer
      - .offset:         40
        .size:           8
        .value_kind:     by_value
      - .address_space:  global
        .offset:         48
        .size:           8
        .value_kind:     global_buffer
      - .address_space:  global
        .offset:         56
        .size:           8
        .value_kind:     global_buffer
      - .address_space:  global
        .offset:         64
        .size:           8
        .value_kind:     global_buffer
      - .address_space:  global
        .offset:         72
        .size:           8
        .value_kind:     global_buffer
      - .offset:         80
        .size:           4
        .value_kind:     by_value
      - .address_space:  global
        .offset:         88
        .size:           8
        .value_kind:     global_buffer
      - .address_space:  global
        .offset:         96
        .size:           8
        .value_kind:     global_buffer
    .group_segment_fixed_size: 22464
    .kernarg_segment_align: 8
    .kernarg_segment_size: 104
    .language:       OpenCL C
    .language_version:
      - 2
      - 0
    .max_flat_workgroup_size: 117
    .name:           bluestein_single_back_len1404_dim1_dp_op_CI_CI
    .private_segment_fixed_size: 0
    .sgpr_count:     56
    .sgpr_spill_count: 0
    .symbol:         bluestein_single_back_len1404_dim1_dp_op_CI_CI.kd
    .uniform_work_group_size: 1
    .uses_dynamic_stack: false
    .vgpr_count:     388
    .vgpr_spill_count: 0
    .wavefront_size: 64
amdhsa.target:   amdgcn-amd-amdhsa--gfx950
amdhsa.version:
  - 1
  - 2
...

	.end_amdgpu_metadata
